;; amdgpu-corpus repo=pytorch/pytorch kind=compiled arch=gfx1100 opt=O3
	.text
	.amdgcn_target "amdgcn-amd-amdhsa--gfx1100"
	.amdhsa_code_object_version 6
	.section	.text._ZN12_GLOBAL__N_137randperm_handle_duplicate_keys_kernelIiN2at6native12_GLOBAL__N_110OpaqueTypeILi1EEEEEvPT_PT0_S6_iNS1_15PhiloxCudaStateE,"axG",@progbits,_ZN12_GLOBAL__N_137randperm_handle_duplicate_keys_kernelIiN2at6native12_GLOBAL__N_110OpaqueTypeILi1EEEEEvPT_PT0_S6_iNS1_15PhiloxCudaStateE,comdat
	.globl	_ZN12_GLOBAL__N_137randperm_handle_duplicate_keys_kernelIiN2at6native12_GLOBAL__N_110OpaqueTypeILi1EEEEEvPT_PT0_S6_iNS1_15PhiloxCudaStateE ; -- Begin function _ZN12_GLOBAL__N_137randperm_handle_duplicate_keys_kernelIiN2at6native12_GLOBAL__N_110OpaqueTypeILi1EEEEEvPT_PT0_S6_iNS1_15PhiloxCudaStateE
	.p2align	8
	.type	_ZN12_GLOBAL__N_137randperm_handle_duplicate_keys_kernelIiN2at6native12_GLOBAL__N_110OpaqueTypeILi1EEEEEvPT_PT0_S6_iNS1_15PhiloxCudaStateE,@function
_ZN12_GLOBAL__N_137randperm_handle_duplicate_keys_kernelIiN2at6native12_GLOBAL__N_110OpaqueTypeILi1EEEEEvPT_PT0_S6_iNS1_15PhiloxCudaStateE: ; @_ZN12_GLOBAL__N_137randperm_handle_duplicate_keys_kernelIiN2at6native12_GLOBAL__N_110OpaqueTypeILi1EEEEEvPT_PT0_S6_iNS1_15PhiloxCudaStateE
; %bb.0:
	s_clause 0x1
	s_load_b32 s4, s[0:1], 0x44
	s_load_b64 s[2:3], s[0:1], 0x10
	s_waitcnt lgkmcnt(0)
	s_and_b32 s4, s4, 0xffff
	s_delay_alu instid0(SALU_CYCLE_1)
	v_mad_u64_u32 v[1:2], null, s15, s4, v[0:1]
	s_add_i32 s4, s3, -1
	s_delay_alu instid0(VALU_DEP_1) | instid1(SALU_CYCLE_1)
	v_cmp_gt_i32_e32 vcc_lo, s4, v1
	s_and_saveexec_b32 s4, vcc_lo
	s_cbranch_execz .LBB0_18
; %bb.1:
	s_load_b128 s[4:7], s[0:1], 0x0
	v_ashrrev_i32_e32 v2, 31, v1
	s_delay_alu instid0(VALU_DEP_1) | instskip(SKIP_1) | instid1(VALU_DEP_1)
	v_lshlrev_b64 v[3:4], 2, v[1:2]
	s_waitcnt lgkmcnt(0)
	v_add_co_u32 v3, vcc_lo, s4, v3
	s_delay_alu instid0(VALU_DEP_2) | instskip(SKIP_4) | instid1(VALU_DEP_1)
	v_add_co_ci_u32_e32 v4, vcc_lo, s5, v4, vcc_lo
	global_load_b64 v[5:6], v[3:4], off
	s_waitcnt vmcnt(0)
	v_and_b32_e32 v0, s2, v5
	v_and_b32_e32 v6, s2, v6
	v_cmp_eq_u32_e32 vcc_lo, v0, v6
	s_and_b32 exec_lo, exec_lo, vcc_lo
	s_cbranch_execz .LBB0_18
; %bb.2:
	v_cmp_eq_u32_e64 s4, 0, v1
	s_mov_b32 s5, exec_lo
	v_cmpx_ne_u32_e32 0, v1
	s_cbranch_execz .LBB0_4
; %bb.3:
	global_load_b32 v6, v[3:4], off offset:-4
	s_and_not1_b32 s4, s4, exec_lo
	s_waitcnt vmcnt(0)
	v_and_b32_e32 v6, s2, v6
	s_delay_alu instid0(VALU_DEP_1) | instskip(SKIP_1) | instid1(SALU_CYCLE_1)
	v_cmp_ne_u32_e32 vcc_lo, v0, v6
	s_and_b32 s8, vcc_lo, exec_lo
	s_or_b32 s4, s4, s8
.LBB0_4:
	s_or_b32 exec_lo, exec_lo, s5
	s_delay_alu instid0(SALU_CYCLE_1)
	s_and_b32 exec_lo, exec_lo, s4
	s_cbranch_execz .LBB0_18
; %bb.5:
	s_clause 0x2
	s_load_b128 s[8:11], s[0:1], 0x18
	s_load_b64 s[4:5], s[0:1], 0x28
	s_load_b32 s1, s[0:1], 0x30
	v_add_co_u32 v6, vcc_lo, v3, 4
	v_add_co_ci_u32_e32 v7, vcc_lo, 0, v4, vcc_lo
	v_add_nc_u32_e32 v0, 1, v1
	s_mov_b64 s[12:13], 0
	s_mov_b32 s16, 0
                                        ; implicit-def: $sgpr17
                                        ; implicit-def: $sgpr19
                                        ; implicit-def: $sgpr18
	s_set_inst_prefetch_distance 0x1
	s_branch .LBB0_7
	.p2align	6
.LBB0_6:                                ;   in Loop: Header=BB0_7 Depth=1
	s_or_b32 exec_lo, exec_lo, s20
	s_delay_alu instid0(SALU_CYCLE_1) | instskip(SKIP_4) | instid1(SALU_CYCLE_1)
	s_and_b32 s0, exec_lo, s19
	v_dual_mov_b32 v3, s12 :: v_dual_mov_b32 v4, s13
	s_or_b32 s16, s0, s16
	s_and_not1_b32 s0, s17, exec_lo
	s_and_b32 s12, s18, exec_lo
	s_or_b32 s17, s0, s12
	s_mov_b64 s[12:13], s[14:15]
	s_and_not1_b32 exec_lo, exec_lo, s16
	s_cbranch_execz .LBB0_9
.LBB0_7:                                ; =>This Inner Loop Header: Depth=1
	v_add_nc_u32_e32 v3, s12, v0
	s_or_b32 s18, s18, exec_lo
	s_or_b32 s19, s19, exec_lo
	s_mov_b32 s20, exec_lo
                                        ; implicit-def: $sgpr14_sgpr15
	s_delay_alu instid0(VALU_DEP_1)
	v_cmpx_gt_i32_e64 s3, v3
	s_cbranch_execz .LBB0_6
; %bb.8:                                ;   in Loop: Header=BB0_7 Depth=1
	global_load_b32 v3, v[6:7], off
	v_add_co_u32 v6, s0, v6, 4
	s_add_u32 s14, s12, 1
	v_add_co_ci_u32_e64 v7, s0, 0, v7, s0
	s_addc_u32 s15, s13, 0
	s_and_not1_b32 s0, s19, exec_lo
	s_and_not1_b32 s18, s18, exec_lo
	s_waitcnt vmcnt(0)
	v_xor_b32_e32 v3, v3, v5
	s_delay_alu instid0(VALU_DEP_1) | instskip(NEXT) | instid1(VALU_DEP_1)
	v_and_b32_e32 v3, s2, v3
	v_cmp_ne_u32_e32 vcc_lo, 0, v3
	s_and_b32 s19, vcc_lo, exec_lo
	s_delay_alu instid0(SALU_CYCLE_1)
	s_or_b32 s19, s0, s19
	s_branch .LBB0_6
.LBB0_9:
	s_set_inst_prefetch_distance 0x2
	s_or_b32 exec_lo, exec_lo, s16
	s_xor_b32 s0, s17, -1
	s_delay_alu instid0(SALU_CYCLE_1) | instskip(NEXT) | instid1(SALU_CYCLE_1)
	s_and_saveexec_b32 s2, s0
	s_xor_b32 s0, exec_lo, s2
	s_delay_alu instid0(SALU_CYCLE_1) | instskip(NEXT) | instid1(SALU_CYCLE_1)
	s_and_not1_saveexec_b32 s0, s0
	s_or_b32 exec_lo, exec_lo, s0
	s_waitcnt lgkmcnt(0)
	v_dual_mov_b32 v12, s11 :: v_dual_mov_b32 v11, s10
	v_dual_mov_b32 v5, s8 :: v_dual_mov_b32 v6, s9
	s_bitcmp0_b32 s1, 0
	s_cbranch_scc1 .LBB0_11
; %bb.10:
	v_dual_mov_b32 v5, s10 :: v_dual_mov_b32 v6, s11
	flat_load_b64 v[7:8], v[5:6]
	v_dual_mov_b32 v5, s8 :: v_dual_mov_b32 v6, s9
	flat_load_b64 v[5:6], v[5:6]
	s_waitcnt vmcnt(1) lgkmcnt(1)
	v_add_co_u32 v11, vcc_lo, v7, s4
	v_add_co_ci_u32_e32 v12, vcc_lo, s5, v8, vcc_lo
.LBB0_11:
	v_cmp_ne_u32_e32 vcc_lo, 0, v3
	s_and_b32 exec_lo, exec_lo, vcc_lo
	s_cbranch_execz .LBB0_18
; %bb.12:
	s_delay_alu instid0(VALU_DEP_2)
	v_alignbit_b32 v0, v12, v11, 2
	v_mad_u64_u32 v[7:8], null, 0xcd9e8d57, v1, 0
	v_lshrrev_b32_e32 v14, 2, v12
	s_waitcnt vmcnt(0) lgkmcnt(0)
	v_xor_b32_e32 v12, v6, v2
	v_mad_u64_u32 v[9:10], null, 0xd2511f53, v0, 0
	v_mov_b32_e32 v30, v6
	v_add_co_u32 v16, null, 0x9e3779b9, v5
	v_xor3_b32 v8, v8, v5, v14
	v_add_co_u32 v17, null, 0x3c6ef372, v5
	v_xor_b32_e32 v10, v12, v10
	v_add_co_u32 v15, null, 0xbb67ae85, v30
	s_delay_alu instid0(VALU_DEP_4) | instskip(NEXT) | instid1(VALU_DEP_3)
	v_mad_u64_u32 v[12:13], null, 0xd2511f53, v8, 0
	v_mad_u64_u32 v[19:20], null, 0xcd9e8d57, v10, 0
	v_add_co_u32 v18, null, 0x76cf5d0a, v30
	v_add_co_u32 v21, null, 0x78dde6e4, v5
	s_delay_alu instid0(VALU_DEP_4) | instskip(SKIP_3) | instid1(VALU_DEP_4)
	v_xor3_b32 v9, v15, v13, v9
	v_add_co_u32 v22, null, 0xed9eba14, v30
	v_xor3_b32 v13, v16, v20, v7
	v_add_co_u32 v20, null, 0xdaa66d2b, v5
	v_mad_u64_u32 v[7:8], null, 0xcd9e8d57, v9, 0
	s_delay_alu instid0(VALU_DEP_3) | instskip(SKIP_2) | instid1(VALU_DEP_4)
	v_mad_u64_u32 v[9:10], null, 0xd2511f53, v13, 0
	v_add_co_u32 v25, null, 0xb54cda56, v5
	v_add_co_u32 v26, null, 0x646e171e, v30
	v_xor3_b32 v8, v17, v8, v19
	v_add_co_u32 v19, null, 0x32370b8f, v30
	v_xor3_b32 v10, v18, v10, v12
	v_add_co_u32 v29, null, 0xf1bbcdc8, v5
	s_delay_alu instid0(VALU_DEP_4) | instskip(NEXT) | instid1(VALU_DEP_3)
	v_mad_u64_u32 v[12:13], null, 0xd2511f53, v8, 0
	v_mad_u64_u32 v[23:24], null, 0xcd9e8d57, v10, 0
	s_mov_b32 s0, 0
	s_delay_alu instid0(VALU_DEP_2) | instskip(NEXT) | instid1(VALU_DEP_2)
	v_xor3_b32 v9, v19, v13, v9
	v_xor3_b32 v13, v20, v24, v7
	v_add_co_u32 v24, null, 0x1715609d, v5
	s_delay_alu instid0(VALU_DEP_3) | instskip(NEXT) | instid1(VALU_DEP_3)
	v_mad_u64_u32 v[7:8], null, 0xcd9e8d57, v9, 0
	v_mad_u64_u32 v[9:10], null, 0xd2511f53, v13, 0
	s_delay_alu instid0(VALU_DEP_2) | instskip(SKIP_1) | instid1(VALU_DEP_3)
	v_xor3_b32 v8, v21, v8, v23
	v_add_co_u32 v23, null, 0xa9066899, v30
	v_xor3_b32 v10, v22, v10, v12
	s_delay_alu instid0(VALU_DEP_3) | instskip(NEXT) | instid1(VALU_DEP_2)
	v_mad_u64_u32 v[12:13], null, 0xd2511f53, v8, 0
	v_mad_u64_u32 v[27:28], null, 0xcd9e8d57, v10, 0
	s_delay_alu instid0(VALU_DEP_2) | instskip(NEXT) | instid1(VALU_DEP_2)
	v_xor3_b32 v9, v23, v13, v9
	v_xor3_b32 v13, v24, v28, v7
	v_add_co_u32 v28, null, 0x5384540f, v5
	s_delay_alu instid0(VALU_DEP_3) | instskip(NEXT) | instid1(VALU_DEP_3)
	v_mad_u64_u32 v[7:8], null, 0xcd9e8d57, v9, 0
	v_mad_u64_u32 v[9:10], null, 0xd2511f53, v13, 0
	s_delay_alu instid0(VALU_DEP_2) | instskip(SKIP_1) | instid1(VALU_DEP_3)
	v_xor3_b32 v8, v25, v8, v27
	v_add_co_u32 v27, null, 0x1fd5c5a3, v30
	v_xor3_b32 v10, v26, v10, v12
	s_delay_alu instid0(VALU_DEP_3) | instskip(NEXT) | instid1(VALU_DEP_2)
	v_mad_u64_u32 v[12:13], null, 0xd2511f53, v8, 0
	v_mad_u64_u32 v[31:32], null, 0xcd9e8d57, v10, 0
	s_delay_alu instid0(VALU_DEP_2) | instskip(NEXT) | instid1(VALU_DEP_2)
	v_xor3_b32 v8, v27, v13, v9
	v_xor3_b32 v7, v28, v32, v7
	v_add_nc_u32_e32 v32, 0x8ff34781, v5
	s_delay_alu instid0(VALU_DEP_3) | instskip(NEXT) | instid1(VALU_DEP_3)
	v_mad_u64_u32 v[33:34], null, 0xcd9e8d57, v8, 0
	v_mad_u64_u32 v[35:36], null, 0xd2511f53, v7, 0
	s_delay_alu instid0(VALU_DEP_2) | instskip(SKIP_3) | instid1(VALU_DEP_4)
	v_xor3_b32 v9, v29, v34, v31
	v_add_nc_u32_e32 v31, 0x96a522ad, v6
	v_add_co_u32 v30, null, 0xdb3d7428, v30
	v_not_b32_e32 v34, v3
	v_mad_u64_u32 v[7:8], null, 0xd2511f53, v9, 0
	s_delay_alu instid0(VALU_DEP_3) | instskip(NEXT) | instid1(VALU_DEP_1)
	v_xor3_b32 v12, v30, v36, v12
	v_mad_u64_u32 v[9:10], null, 0xcd9e8d57, v12, 0
	s_delay_alu instid0(VALU_DEP_3) | instskip(SKIP_1) | instid1(VALU_DEP_2)
	v_xor3_b32 v36, v8, v35, v31
	v_add_co_u32 v8, vcc_lo, s6, v1
	v_dual_mov_b32 v38, v36 :: v_dual_and_b32 v35, 3, v11
	s_delay_alu instid0(VALU_DEP_4) | instskip(SKIP_1) | instid1(VALU_DEP_2)
	v_xor3_b32 v37, v10, v33, v32
	v_add_co_ci_u32_e32 v33, vcc_lo, s7, v2, vcc_lo
	v_mov_b32_e32 v11, v37
	s_branch .LBB0_14
.LBB0_13:                               ;   in Loop: Header=BB0_14 Depth=1
	s_or_b32 exec_lo, exec_lo, s1
	v_add_co_u32 v35, vcc_lo, v3, -1
	v_add_co_ci_u32_e32 v36, vcc_lo, -1, v4, vcc_lo
	v_cmp_gt_i32_e32 vcc_lo, 2, v3
	s_delay_alu instid0(VALU_DEP_3) | instskip(NEXT) | instid1(VALU_DEP_3)
	v_dual_mov_b32 v3, v35 :: v_dual_add_nc_u32 v34, 1, v34
	v_dual_mov_b32 v4, v36 :: v_dual_mov_b32 v35, v13
	v_dual_mov_b32 v37, v11 :: v_dual_mov_b32 v36, v38
	v_mov_b32_e32 v9, v12
	v_mov_b32_e32 v7, v10
	s_or_b32 s0, vcc_lo, s0
	s_delay_alu instid0(SALU_CYCLE_1)
	s_and_not1_b32 exec_lo, exec_lo, s0
	s_cbranch_execz .LBB0_18
.LBB0_14:                               ; =>This Inner Loop Header: Depth=1
	v_dual_mov_b32 v12, v9 :: v_dual_add_nc_u32 v13, 1, v35
	v_mov_b32_e32 v10, v7
	s_mov_b32 s1, exec_lo
	s_delay_alu instid0(VALU_DEP_2)
	v_cmpx_eq_u32_e32 4, v13
	s_cbranch_execz .LBB0_16
; %bb.15:                               ;   in Loop: Header=BB0_14 Depth=1
	v_add_co_u32 v0, vcc_lo, v0, 1
	s_delay_alu instid0(VALU_DEP_1) | instskip(SKIP_1) | instid1(VALU_DEP_1)
	v_cndmask_b32_e64 v10, 0, 1, vcc_lo
	v_add_co_ci_u32_e32 v14, vcc_lo, 0, v14, vcc_lo
	v_cmp_eq_u32_e32 vcc_lo, 0, v14
	s_delay_alu instid0(VALU_DEP_3) | instskip(SKIP_1) | instid1(VALU_DEP_2)
	v_cndmask_b32_e32 v12, 0, v10, vcc_lo
	v_mad_u64_u32 v[10:11], null, 0xd2511f53, v0, 0
	v_add_nc_u32_e32 v1, v12, v1
	s_delay_alu instid0(VALU_DEP_2) | instskip(NEXT) | instid1(VALU_DEP_2)
	v_xor_b32_e32 v11, v11, v6
	v_cmp_eq_u32_e32 vcc_lo, 0, v1
	v_cndmask_b32_e32 v38, 0, v12, vcc_lo
	v_mad_u64_u32 v[12:13], null, 0xcd9e8d57, v1, 0
	s_delay_alu instid0(VALU_DEP_2) | instskip(NEXT) | instid1(VALU_DEP_2)
	v_add_nc_u32_e32 v2, v38, v2
	v_xor3_b32 v13, v13, v5, v14
	s_delay_alu instid0(VALU_DEP_2) | instskip(NEXT) | instid1(VALU_DEP_2)
	v_xor_b32_e32 v11, v2, v11
	v_mad_u64_u32 v[38:39], null, 0xd2511f53, v13, 0
	s_delay_alu instid0(VALU_DEP_2) | instskip(NEXT) | instid1(VALU_DEP_2)
	v_mad_u64_u32 v[40:41], null, 0xcd9e8d57, v11, 0
	v_xor3_b32 v13, v15, v39, v10
	s_delay_alu instid0(VALU_DEP_2) | instskip(NEXT) | instid1(VALU_DEP_2)
	v_xor3_b32 v39, v16, v41, v12
	v_mad_u64_u32 v[10:11], null, 0xcd9e8d57, v13, 0
	s_delay_alu instid0(VALU_DEP_2) | instskip(NEXT) | instid1(VALU_DEP_2)
	v_mad_u64_u32 v[12:13], null, 0xd2511f53, v39, 0
	v_xor3_b32 v11, v17, v11, v40
	s_delay_alu instid0(VALU_DEP_2) | instskip(NEXT) | instid1(VALU_DEP_2)
	v_xor3_b32 v13, v18, v13, v38
	;; [unrolled: 6-line block ×8, first 2 shown]
	v_mad_u64_u32 v[10:11], null, 0xd2511f53, v12, 0
	s_delay_alu instid0(VALU_DEP_2) | instskip(NEXT) | instid1(VALU_DEP_2)
	v_mad_u64_u32 v[12:13], null, 0xcd9e8d57, v38, 0
	v_xor3_b32 v38, v11, v43, v31
	s_delay_alu instid0(VALU_DEP_2)
	v_xor3_b32 v11, v13, v41, v32
	v_mov_b32_e32 v13, 0
.LBB0_16:                               ;   in Loop: Header=BB0_14 Depth=1
	s_or_b32 exec_lo, exec_lo, s1
	v_add_nc_u32_e32 v39, 1, v3
	v_cmp_eq_u32_e32 vcc_lo, 1, v35
	s_mov_b32 s1, exec_lo
	s_delay_alu instid0(VALU_DEP_2) | instskip(SKIP_2) | instid1(VALU_DEP_3)
	v_cvt_f32_u32_e32 v40, v39
	v_cndmask_b32_e32 v9, v37, v9, vcc_lo
	v_cmp_eq_u32_e32 vcc_lo, 2, v35
	v_rcp_iflag_f32_e32 v40, v40
	s_delay_alu instid0(VALU_DEP_2) | instskip(SKIP_3) | instid1(VALU_DEP_1)
	v_cndmask_b32_e32 v9, v9, v36, vcc_lo
	v_cmp_eq_u32_e32 vcc_lo, 3, v35
	s_waitcnt_depctr 0xfff
	v_dual_cndmask_b32 v7, v9, v7 :: v_dual_mul_f32 v40, 0x4f7ffffe, v40
	v_cvt_u32_f32_e32 v40, v40
	s_delay_alu instid0(VALU_DEP_1) | instskip(NEXT) | instid1(VALU_DEP_1)
	v_mul_lo_u32 v41, v34, v40
	v_mul_hi_u32 v37, v40, v41
	s_delay_alu instid0(VALU_DEP_1) | instskip(NEXT) | instid1(VALU_DEP_1)
	v_add_nc_u32_e32 v9, v40, v37
	v_mul_hi_u32 v9, v7, v9
	s_delay_alu instid0(VALU_DEP_1) | instskip(NEXT) | instid1(VALU_DEP_1)
	v_mul_lo_u32 v9, v9, v39
	v_sub_nc_u32_e32 v7, v7, v9
	s_delay_alu instid0(VALU_DEP_1) | instskip(SKIP_1) | instid1(VALU_DEP_2)
	v_sub_nc_u32_e32 v9, v7, v39
	v_cmp_ge_u32_e32 vcc_lo, v7, v39
	v_cndmask_b32_e32 v7, v7, v9, vcc_lo
	s_delay_alu instid0(VALU_DEP_1) | instskip(SKIP_1) | instid1(VALU_DEP_2)
	v_add_nc_u32_e32 v9, v7, v34
	v_cmp_ge_u32_e32 vcc_lo, v7, v39
	v_cndmask_b32_e32 v7, v7, v9, vcc_lo
	s_delay_alu instid0(VALU_DEP_1)
	v_cmpx_ne_u32_e64 v3, v7
	s_cbranch_execz .LBB0_13
; %bb.17:                               ;   in Loop: Header=BB0_14 Depth=1
	v_add_co_u32 v35, vcc_lo, v8, v7
	v_add_co_ci_u32_e32 v36, vcc_lo, 0, v33, vcc_lo
	v_add_co_u32 v39, vcc_lo, v8, v3
	v_add_co_ci_u32_e32 v40, vcc_lo, v33, v4, vcc_lo
	s_clause 0x1
	global_load_u8 v7, v[35:36], off
	global_load_u8 v9, v[39:40], off
	s_waitcnt vmcnt(1)
	global_store_b8 v[39:40], v7, off
	s_waitcnt vmcnt(0)
	global_store_b8 v[35:36], v9, off
	s_branch .LBB0_13
.LBB0_18:
	s_nop 0
	s_sendmsg sendmsg(MSG_DEALLOC_VGPRS)
	s_endpgm
	.section	.rodata,"a",@progbits
	.p2align	6, 0x0
	.amdhsa_kernel _ZN12_GLOBAL__N_137randperm_handle_duplicate_keys_kernelIiN2at6native12_GLOBAL__N_110OpaqueTypeILi1EEEEEvPT_PT0_S6_iNS1_15PhiloxCudaStateE
		.amdhsa_group_segment_fixed_size 0
		.amdhsa_private_segment_fixed_size 0
		.amdhsa_kernarg_size 312
		.amdhsa_user_sgpr_count 15
		.amdhsa_user_sgpr_dispatch_ptr 0
		.amdhsa_user_sgpr_queue_ptr 0
		.amdhsa_user_sgpr_kernarg_segment_ptr 1
		.amdhsa_user_sgpr_dispatch_id 0
		.amdhsa_user_sgpr_private_segment_size 0
		.amdhsa_wavefront_size32 1
		.amdhsa_uses_dynamic_stack 0
		.amdhsa_enable_private_segment 0
		.amdhsa_system_sgpr_workgroup_id_x 1
		.amdhsa_system_sgpr_workgroup_id_y 0
		.amdhsa_system_sgpr_workgroup_id_z 0
		.amdhsa_system_sgpr_workgroup_info 0
		.amdhsa_system_vgpr_workitem_id 0
		.amdhsa_next_free_vgpr 45
		.amdhsa_next_free_sgpr 21
		.amdhsa_reserve_vcc 1
		.amdhsa_float_round_mode_32 0
		.amdhsa_float_round_mode_16_64 0
		.amdhsa_float_denorm_mode_32 3
		.amdhsa_float_denorm_mode_16_64 3
		.amdhsa_dx10_clamp 1
		.amdhsa_ieee_mode 1
		.amdhsa_fp16_overflow 0
		.amdhsa_workgroup_processor_mode 1
		.amdhsa_memory_ordered 1
		.amdhsa_forward_progress 0
		.amdhsa_shared_vgpr_count 0
		.amdhsa_exception_fp_ieee_invalid_op 0
		.amdhsa_exception_fp_denorm_src 0
		.amdhsa_exception_fp_ieee_div_zero 0
		.amdhsa_exception_fp_ieee_overflow 0
		.amdhsa_exception_fp_ieee_underflow 0
		.amdhsa_exception_fp_ieee_inexact 0
		.amdhsa_exception_int_div_zero 0
	.end_amdhsa_kernel
	.section	.text._ZN12_GLOBAL__N_137randperm_handle_duplicate_keys_kernelIiN2at6native12_GLOBAL__N_110OpaqueTypeILi1EEEEEvPT_PT0_S6_iNS1_15PhiloxCudaStateE,"axG",@progbits,_ZN12_GLOBAL__N_137randperm_handle_duplicate_keys_kernelIiN2at6native12_GLOBAL__N_110OpaqueTypeILi1EEEEEvPT_PT0_S6_iNS1_15PhiloxCudaStateE,comdat
.Lfunc_end0:
	.size	_ZN12_GLOBAL__N_137randperm_handle_duplicate_keys_kernelIiN2at6native12_GLOBAL__N_110OpaqueTypeILi1EEEEEvPT_PT0_S6_iNS1_15PhiloxCudaStateE, .Lfunc_end0-_ZN12_GLOBAL__N_137randperm_handle_duplicate_keys_kernelIiN2at6native12_GLOBAL__N_110OpaqueTypeILi1EEEEEvPT_PT0_S6_iNS1_15PhiloxCudaStateE
                                        ; -- End function
	.section	.AMDGPU.csdata,"",@progbits
; Kernel info:
; codeLenInByte = 2184
; NumSgprs: 23
; NumVgprs: 45
; ScratchSize: 0
; MemoryBound: 0
; FloatMode: 240
; IeeeMode: 1
; LDSByteSize: 0 bytes/workgroup (compile time only)
; SGPRBlocks: 2
; VGPRBlocks: 5
; NumSGPRsForWavesPerEU: 23
; NumVGPRsForWavesPerEU: 45
; Occupancy: 16
; WaveLimiterHint : 0
; COMPUTE_PGM_RSRC2:SCRATCH_EN: 0
; COMPUTE_PGM_RSRC2:USER_SGPR: 15
; COMPUTE_PGM_RSRC2:TRAP_HANDLER: 0
; COMPUTE_PGM_RSRC2:TGID_X_EN: 1
; COMPUTE_PGM_RSRC2:TGID_Y_EN: 0
; COMPUTE_PGM_RSRC2:TGID_Z_EN: 0
; COMPUTE_PGM_RSRC2:TIDIG_COMP_CNT: 0
	.section	.text._ZN12_GLOBAL__N_137randperm_handle_duplicate_keys_kernelIiN2at6native12_GLOBAL__N_110OpaqueTypeILi4EEEEEvPT_PT0_S6_iNS1_15PhiloxCudaStateE,"axG",@progbits,_ZN12_GLOBAL__N_137randperm_handle_duplicate_keys_kernelIiN2at6native12_GLOBAL__N_110OpaqueTypeILi4EEEEEvPT_PT0_S6_iNS1_15PhiloxCudaStateE,comdat
	.globl	_ZN12_GLOBAL__N_137randperm_handle_duplicate_keys_kernelIiN2at6native12_GLOBAL__N_110OpaqueTypeILi4EEEEEvPT_PT0_S6_iNS1_15PhiloxCudaStateE ; -- Begin function _ZN12_GLOBAL__N_137randperm_handle_duplicate_keys_kernelIiN2at6native12_GLOBAL__N_110OpaqueTypeILi4EEEEEvPT_PT0_S6_iNS1_15PhiloxCudaStateE
	.p2align	8
	.type	_ZN12_GLOBAL__N_137randperm_handle_duplicate_keys_kernelIiN2at6native12_GLOBAL__N_110OpaqueTypeILi4EEEEEvPT_PT0_S6_iNS1_15PhiloxCudaStateE,@function
_ZN12_GLOBAL__N_137randperm_handle_duplicate_keys_kernelIiN2at6native12_GLOBAL__N_110OpaqueTypeILi4EEEEEvPT_PT0_S6_iNS1_15PhiloxCudaStateE: ; @_ZN12_GLOBAL__N_137randperm_handle_duplicate_keys_kernelIiN2at6native12_GLOBAL__N_110OpaqueTypeILi4EEEEEvPT_PT0_S6_iNS1_15PhiloxCudaStateE
; %bb.0:
	s_clause 0x1
	s_load_b32 s4, s[0:1], 0x44
	s_load_b64 s[2:3], s[0:1], 0x10
	s_waitcnt lgkmcnt(0)
	s_and_b32 s4, s4, 0xffff
	s_delay_alu instid0(SALU_CYCLE_1)
	v_mad_u64_u32 v[1:2], null, s15, s4, v[0:1]
	s_add_i32 s4, s3, -1
	s_delay_alu instid0(VALU_DEP_1) | instid1(SALU_CYCLE_1)
	v_cmp_gt_i32_e32 vcc_lo, s4, v1
	s_and_saveexec_b32 s4, vcc_lo
	s_cbranch_execz .LBB1_20
; %bb.1:
	s_load_b128 s[4:7], s[0:1], 0x0
	v_ashrrev_i32_e32 v2, 31, v1
	s_delay_alu instid0(VALU_DEP_1) | instskip(SKIP_1) | instid1(VALU_DEP_1)
	v_lshlrev_b64 v[7:8], 2, v[1:2]
	s_waitcnt lgkmcnt(0)
	v_add_co_u32 v3, vcc_lo, s4, v7
	s_delay_alu instid0(VALU_DEP_2) | instskip(SKIP_4) | instid1(VALU_DEP_1)
	v_add_co_ci_u32_e32 v4, vcc_lo, s5, v8, vcc_lo
	global_load_b64 v[5:6], v[3:4], off
	s_waitcnt vmcnt(0)
	v_and_b32_e32 v0, s2, v5
	v_and_b32_e32 v6, s2, v6
	v_cmp_eq_u32_e32 vcc_lo, v0, v6
	s_and_b32 exec_lo, exec_lo, vcc_lo
	s_cbranch_execz .LBB1_20
; %bb.2:
	v_cmp_eq_u32_e64 s4, 0, v1
	s_mov_b32 s5, exec_lo
	v_cmpx_ne_u32_e32 0, v1
	s_cbranch_execz .LBB1_4
; %bb.3:
	global_load_b32 v6, v[3:4], off offset:-4
	s_and_not1_b32 s4, s4, exec_lo
	s_waitcnt vmcnt(0)
	v_and_b32_e32 v6, s2, v6
	s_delay_alu instid0(VALU_DEP_1) | instskip(SKIP_1) | instid1(SALU_CYCLE_1)
	v_cmp_ne_u32_e32 vcc_lo, v0, v6
	s_and_b32 s8, vcc_lo, exec_lo
	s_or_b32 s4, s4, s8
.LBB1_4:
	s_or_b32 exec_lo, exec_lo, s5
	s_delay_alu instid0(SALU_CYCLE_1)
	s_and_b32 exec_lo, exec_lo, s4
	s_cbranch_execz .LBB1_20
; %bb.5:
	s_clause 0x2
	s_load_b128 s[8:11], s[0:1], 0x18
	s_load_b64 s[4:5], s[0:1], 0x28
	s_load_b32 s1, s[0:1], 0x30
	v_add_co_u32 v9, vcc_lo, v3, 4
	v_add_co_ci_u32_e32 v10, vcc_lo, 0, v4, vcc_lo
	v_add_co_u32 v11, vcc_lo, s6, v7
	v_add_co_ci_u32_e32 v12, vcc_lo, s7, v8, vcc_lo
	s_mov_b32 s16, 1
	s_mov_b32 s13, 0
                                        ; implicit-def: $sgpr12
                                        ; implicit-def: $sgpr15
                                        ; implicit-def: $sgpr14
	s_set_inst_prefetch_distance 0x1
	s_branch .LBB1_7
	.p2align	6
.LBB1_6:                                ;   in Loop: Header=BB1_7 Depth=1
	s_or_b32 exec_lo, exec_lo, s18
	s_delay_alu instid0(SALU_CYCLE_1)
	s_and_b32 s0, exec_lo, s15
	v_mov_b32_e32 v0, s16
	s_or_b32 s13, s0, s13
	s_and_not1_b32 s0, s12, exec_lo
	s_and_b32 s12, s14, exec_lo
	s_mov_b32 s16, s17
	s_or_b32 s12, s0, s12
	s_and_not1_b32 exec_lo, exec_lo, s13
	s_cbranch_execz .LBB1_9
.LBB1_7:                                ; =>This Inner Loop Header: Depth=1
	v_dual_mov_b32 v3, v11 :: v_dual_add_nc_u32 v0, s16, v1
	v_mov_b32_e32 v4, v12
	s_or_b32 s14, s14, exec_lo
	s_or_b32 s15, s15, exec_lo
	s_mov_b32 s18, exec_lo
                                        ; implicit-def: $sgpr17
                                        ; implicit-def: $vgpr11_vgpr12
	v_cmpx_gt_i32_e64 s3, v0
	s_cbranch_execz .LBB1_6
; %bb.8:                                ;   in Loop: Header=BB1_7 Depth=1
	global_load_b32 v0, v[9:10], off
	v_add_co_u32 v11, vcc_lo, v3, 4
	v_add_co_ci_u32_e32 v12, vcc_lo, 0, v4, vcc_lo
	v_add_co_u32 v9, s0, v9, 4
	s_delay_alu instid0(VALU_DEP_1)
	v_add_co_ci_u32_e64 v10, s0, 0, v10, s0
	s_and_not1_b32 s0, s15, exec_lo
	s_add_i32 s17, s16, 1
	s_and_not1_b32 s14, s14, exec_lo
	s_waitcnt vmcnt(0)
	v_xor_b32_e32 v0, v0, v5
	s_delay_alu instid0(VALU_DEP_1) | instskip(NEXT) | instid1(VALU_DEP_1)
	v_and_b32_e32 v0, s2, v0
	v_cmp_ne_u32_e32 vcc_lo, 0, v0
	s_and_b32 s15, vcc_lo, exec_lo
	s_delay_alu instid0(SALU_CYCLE_1)
	s_or_b32 s15, s0, s15
	s_branch .LBB1_6
.LBB1_9:
	s_set_inst_prefetch_distance 0x2
	s_or_b32 exec_lo, exec_lo, s13
	v_add_nc_u32_e32 v9, -1, v0
	s_xor_b32 s0, s12, -1
	s_delay_alu instid0(SALU_CYCLE_1) | instskip(NEXT) | instid1(SALU_CYCLE_1)
	s_and_saveexec_b32 s2, s0
	s_xor_b32 s0, exec_lo, s2
; %bb.10:
	v_add_nc_u32_e32 v9, -1, v0
; %bb.11:
	s_and_not1_saveexec_b32 s0, s0
	s_delay_alu instid0(SALU_CYCLE_1)
	s_or_b32 exec_lo, exec_lo, s0
	s_waitcnt lgkmcnt(0)
	v_dual_mov_b32 v15, s11 :: v_dual_mov_b32 v14, s10
	v_dual_mov_b32 v5, s8 :: v_dual_mov_b32 v6, s9
	s_bitcmp0_b32 s1, 0
	s_cbranch_scc1 .LBB1_13
; %bb.12:
	v_dual_mov_b32 v5, s10 :: v_dual_mov_b32 v6, s11
	flat_load_b64 v[10:11], v[5:6]
	v_dual_mov_b32 v5, s8 :: v_dual_mov_b32 v6, s9
	flat_load_b64 v[5:6], v[5:6]
	s_waitcnt vmcnt(1) lgkmcnt(1)
	v_add_co_u32 v14, vcc_lo, v10, s4
	v_add_co_ci_u32_e32 v15, vcc_lo, s5, v11, vcc_lo
.LBB1_13:
	v_cmp_ne_u32_e32 vcc_lo, 0, v9
	s_and_b32 exec_lo, exec_lo, vcc_lo
	s_cbranch_execz .LBB1_20
; %bb.14:
	s_delay_alu instid0(VALU_DEP_2)
	v_alignbit_b32 v16, v15, v14, 2
	v_mad_u64_u32 v[9:10], null, 0xcd9e8d57, v1, 0
	v_lshrrev_b32_e32 v15, 2, v15
	s_waitcnt vmcnt(0) lgkmcnt(0)
	v_xor_b32_e32 v13, v6, v2
	v_mad_u64_u32 v[11:12], null, 0xd2511f53, v16, 0
	v_mov_b32_e32 v39, v6
	v_add_co_u32 v18, null, 0x9e3779b9, v5
	v_xor3_b32 v10, v10, v5, v15
	v_add_co_u32 v19, null, 0x3c6ef372, v5
	v_xor_b32_e32 v17, v13, v12
	v_add_co_u32 v20, null, 0x76cf5d0a, v39
	s_delay_alu instid0(VALU_DEP_4) | instskip(NEXT) | instid1(VALU_DEP_3)
	v_mad_u64_u32 v[12:13], null, 0xd2511f53, v10, 0
	v_mad_u64_u32 v[21:22], null, 0xcd9e8d57, v17, 0
	v_add_co_u32 v17, null, 0xbb67ae85, v39
	v_add_co_u32 v25, null, 0xa9066899, v39
	;; [unrolled: 1-line block ×3, first 2 shown]
	s_delay_alu instid0(VALU_DEP_3) | instskip(SKIP_3) | instid1(VALU_DEP_3)
	v_xor3_b32 v11, v17, v13, v11
	v_xor3_b32 v13, v18, v22, v9
	v_add_co_u32 v22, null, 0xdaa66d2b, v5
	s_mov_b32 s0, 0
	v_mad_u64_u32 v[9:10], null, 0xcd9e8d57, v11, 0
	s_delay_alu instid0(VALU_DEP_3) | instskip(NEXT) | instid1(VALU_DEP_2)
	v_mad_u64_u32 v[23:24], null, 0xd2511f53, v13, 0
	v_xor3_b32 v13, v19, v10, v21
	s_delay_alu instid0(VALU_DEP_2) | instskip(SKIP_1) | instid1(VALU_DEP_3)
	v_xor3_b32 v21, v20, v24, v12
	v_add_co_u32 v24, null, 0xed9eba14, v39
	v_mad_u64_u32 v[10:11], null, 0xd2511f53, v13, 0
	s_delay_alu instid0(VALU_DEP_3) | instskip(SKIP_1) | instid1(VALU_DEP_1)
	v_mad_u64_u32 v[12:13], null, 0xcd9e8d57, v21, 0
	v_add_co_u32 v21, null, 0x32370b8f, v39
	v_xor3_b32 v11, v21, v11, v23
	s_delay_alu instid0(VALU_DEP_3) | instskip(SKIP_1) | instid1(VALU_DEP_3)
	v_xor3_b32 v9, v22, v13, v9
	v_add_co_u32 v23, null, 0x78dde6e4, v5
	v_mad_u64_u32 v[27:28], null, 0xcd9e8d57, v11, 0
	s_delay_alu instid0(VALU_DEP_3) | instskip(NEXT) | instid1(VALU_DEP_2)
	v_mad_u64_u32 v[29:30], null, 0xd2511f53, v9, 0
	v_xor3_b32 v11, v23, v28, v12
	v_add_co_u32 v28, null, 0x646e171e, v39
	s_delay_alu instid0(VALU_DEP_3) | instskip(SKIP_1) | instid1(VALU_DEP_4)
	v_xor3_b32 v13, v24, v30, v10
	v_add_co_u32 v30, null, 0x5384540f, v5
	v_mad_u64_u32 v[9:10], null, 0xd2511f53, v11, 0
	s_delay_alu instid0(VALU_DEP_3) | instskip(NEXT) | instid1(VALU_DEP_2)
	v_mad_u64_u32 v[11:12], null, 0xcd9e8d57, v13, 0
	v_xor3_b32 v10, v25, v10, v29
	s_delay_alu instid0(VALU_DEP_2) | instskip(NEXT) | instid1(VALU_DEP_2)
	v_xor3_b32 v27, v26, v12, v27
	v_mad_u64_u32 v[12:13], null, 0xcd9e8d57, v10, 0
	s_delay_alu instid0(VALU_DEP_2) | instskip(SKIP_1) | instid1(VALU_DEP_1)
	v_mad_u64_u32 v[31:32], null, 0xd2511f53, v27, 0
	v_add_co_u32 v27, null, 0xb54cda56, v5
	v_xor3_b32 v11, v27, v13, v11
	s_delay_alu instid0(VALU_DEP_3) | instskip(NEXT) | instid1(VALU_DEP_2)
	v_xor3_b32 v13, v28, v32, v9
	v_mad_u64_u32 v[9:10], null, 0xd2511f53, v11, 0
	s_delay_alu instid0(VALU_DEP_2) | instskip(NEXT) | instid1(VALU_DEP_1)
	v_mad_u64_u32 v[33:34], null, 0xcd9e8d57, v13, 0
	v_xor3_b32 v11, v30, v34, v12
	v_add_nc_u32_e32 v34, 0x8ff34781, v5
	v_add_co_u32 v29, null, 0x1fd5c5a3, v39
	v_add_co_u32 v32, null, 0xdb3d7428, v39
	s_delay_alu instid0(VALU_DEP_4) | instskip(NEXT) | instid1(VALU_DEP_3)
	v_mad_u64_u32 v[37:38], null, 0xd2511f53, v11, 0
	v_xor3_b32 v10, v29, v10, v31
	v_add_co_u32 v31, null, 0xf1bbcdc8, v5
	s_delay_alu instid0(VALU_DEP_2) | instskip(NEXT) | instid1(VALU_DEP_4)
	v_mad_u64_u32 v[35:36], null, 0xcd9e8d57, v10, 0
	v_xor3_b32 v9, v32, v38, v9
	s_delay_alu instid0(VALU_DEP_2) | instskip(SKIP_1) | instid1(VALU_DEP_2)
	v_xor3_b32 v12, v31, v36, v33
	v_sub_nc_u32_e32 v36, 0, v0
	v_mad_u64_u32 v[10:11], null, 0xd2511f53, v12, 0
	s_delay_alu instid0(VALU_DEP_4) | instskip(NEXT) | instid1(VALU_DEP_1)
	v_mad_u64_u32 v[12:13], null, 0xcd9e8d57, v9, 0
	v_xor3_b32 v39, v13, v35, v34
	v_add_nc_u32_e32 v33, 0x96a522ad, v6
	s_delay_alu instid0(VALU_DEP_1) | instskip(SKIP_3) | instid1(VALU_DEP_4)
	v_xor3_b32 v38, v11, v37, v33
	v_add_co_u32 v11, vcc_lo, s6, v7
	v_mov_b32_e32 v9, 0
	v_add_co_ci_u32_e32 v35, vcc_lo, s7, v8, vcc_lo
	v_dual_mov_b32 v40, v38 :: v_dual_and_b32 v37, 3, v14
	v_mov_b32_e32 v14, v39
	s_branch .LBB1_16
.LBB1_15:                               ;   in Loop: Header=BB1_16 Depth=1
	s_or_b32 exec_lo, exec_lo, s1
	v_add_co_u32 v3, vcc_lo, v3, -4
	v_add_co_ci_u32_e32 v4, vcc_lo, -1, v4, vcc_lo
	v_cmp_gt_i32_e32 vcc_lo, 2, v10
	v_dual_mov_b32 v37, v41 :: v_dual_add_nc_u32 v36, 1, v36
	v_mov_b32_e32 v0, v10
	v_dual_mov_b32 v39, v14 :: v_dual_mov_b32 v12, v13
	v_mov_b32_e32 v38, v40
	v_mov_b32_e32 v10, v7
	s_or_b32 s0, vcc_lo, s0
	s_delay_alu instid0(SALU_CYCLE_1)
	s_and_not1_b32 exec_lo, exec_lo, s0
	s_cbranch_execz .LBB1_20
.LBB1_16:                               ; =>This Inner Loop Header: Depth=1
	s_delay_alu instid0(VALU_DEP_2) | instskip(SKIP_3) | instid1(VALU_DEP_3)
	v_add_nc_u32_e32 v41, 1, v37
	v_mov_b32_e32 v13, v12
	v_mov_b32_e32 v7, v10
	s_mov_b32 s1, exec_lo
	v_cmpx_eq_u32_e32 4, v41
	s_cbranch_execz .LBB1_18
; %bb.17:                               ;   in Loop: Header=BB1_16 Depth=1
	v_add_co_u32 v16, vcc_lo, v16, 1
	s_delay_alu instid0(VALU_DEP_1) | instskip(SKIP_1) | instid1(VALU_DEP_1)
	v_cndmask_b32_e64 v7, 0, 1, vcc_lo
	v_add_co_ci_u32_e32 v15, vcc_lo, 0, v15, vcc_lo
	v_cmp_eq_u32_e32 vcc_lo, 0, v15
	s_delay_alu instid0(VALU_DEP_3) | instskip(SKIP_1) | instid1(VALU_DEP_2)
	v_cndmask_b32_e32 v13, 0, v7, vcc_lo
	v_mad_u64_u32 v[7:8], null, 0xd2511f53, v16, 0
	v_add_nc_u32_e32 v1, v13, v1
	s_delay_alu instid0(VALU_DEP_2) | instskip(NEXT) | instid1(VALU_DEP_2)
	v_xor_b32_e32 v8, v8, v6
	v_cmp_eq_u32_e32 vcc_lo, 0, v1
	v_cndmask_b32_e32 v40, 0, v13, vcc_lo
	v_mad_u64_u32 v[13:14], null, 0xcd9e8d57, v1, 0
	s_delay_alu instid0(VALU_DEP_2) | instskip(NEXT) | instid1(VALU_DEP_2)
	v_add_nc_u32_e32 v2, v40, v2
	v_xor3_b32 v14, v14, v5, v15
	s_delay_alu instid0(VALU_DEP_2) | instskip(NEXT) | instid1(VALU_DEP_2)
	v_xor_b32_e32 v8, v2, v8
	v_mad_u64_u32 v[40:41], null, 0xd2511f53, v14, 0
	s_delay_alu instid0(VALU_DEP_2) | instskip(NEXT) | instid1(VALU_DEP_2)
	v_mad_u64_u32 v[42:43], null, 0xcd9e8d57, v8, 0
	v_xor3_b32 v14, v17, v41, v7
	s_delay_alu instid0(VALU_DEP_2) | instskip(NEXT) | instid1(VALU_DEP_2)
	v_xor3_b32 v41, v18, v43, v13
	v_mad_u64_u32 v[7:8], null, 0xcd9e8d57, v14, 0
	s_delay_alu instid0(VALU_DEP_2) | instskip(NEXT) | instid1(VALU_DEP_2)
	v_mad_u64_u32 v[13:14], null, 0xd2511f53, v41, 0
	v_xor3_b32 v8, v19, v8, v42
	s_delay_alu instid0(VALU_DEP_2) | instskip(NEXT) | instid1(VALU_DEP_2)
	v_xor3_b32 v14, v20, v14, v40
	;; [unrolled: 6-line block ×6, first 2 shown]
	v_mad_u64_u32 v[40:41], null, 0xd2511f53, v8, 0
	s_delay_alu instid0(VALU_DEP_2) | instskip(NEXT) | instid1(VALU_DEP_2)
	v_mad_u64_u32 v[42:43], null, 0xcd9e8d57, v14, 0
	v_xor3_b32 v8, v29, v41, v13
	v_mov_b32_e32 v41, 0
	s_delay_alu instid0(VALU_DEP_3) | instskip(NEXT) | instid1(VALU_DEP_3)
	v_xor3_b32 v7, v30, v43, v7
	v_mad_u64_u32 v[43:44], null, 0xcd9e8d57, v8, 0
	s_delay_alu instid0(VALU_DEP_2) | instskip(NEXT) | instid1(VALU_DEP_2)
	v_mad_u64_u32 v[45:46], null, 0xd2511f53, v7, 0
	v_xor3_b32 v13, v31, v44, v42
	s_delay_alu instid0(VALU_DEP_2) | instskip(NEXT) | instid1(VALU_DEP_2)
	v_xor3_b32 v40, v32, v46, v40
	v_mad_u64_u32 v[7:8], null, 0xd2511f53, v13, 0
	s_delay_alu instid0(VALU_DEP_2) | instskip(NEXT) | instid1(VALU_DEP_2)
	v_mad_u64_u32 v[13:14], null, 0xcd9e8d57, v40, 0
	v_xor3_b32 v40, v8, v45, v33
	s_delay_alu instid0(VALU_DEP_2)
	v_xor3_b32 v14, v14, v43, v34
.LBB1_18:                               ;   in Loop: Header=BB1_16 Depth=1
	s_or_b32 exec_lo, exec_lo, s1
	v_cvt_f32_u32_e32 v8, v0
	v_cmp_eq_u32_e32 vcc_lo, 1, v37
	s_mov_b32 s1, exec_lo
	s_delay_alu instid0(VALU_DEP_2) | instskip(SKIP_2) | instid1(VALU_DEP_2)
	v_rcp_iflag_f32_e32 v8, v8
	v_cndmask_b32_e32 v12, v39, v12, vcc_lo
	v_cmp_eq_u32_e32 vcc_lo, 2, v37
	v_cndmask_b32_e32 v12, v12, v38, vcc_lo
	v_cmp_eq_u32_e32 vcc_lo, 3, v37
	s_waitcnt_depctr 0xfff
	v_mul_f32_e32 v8, 0x4f7ffffe, v8
	v_cndmask_b32_e32 v10, v12, v10, vcc_lo
	s_delay_alu instid0(VALU_DEP_2) | instskip(NEXT) | instid1(VALU_DEP_1)
	v_cvt_u32_f32_e32 v8, v8
	v_mul_lo_u32 v42, v36, v8
	s_delay_alu instid0(VALU_DEP_1) | instskip(NEXT) | instid1(VALU_DEP_1)
	v_mul_hi_u32 v39, v8, v42
	v_add_nc_u32_e32 v8, v8, v39
	s_delay_alu instid0(VALU_DEP_1) | instskip(NEXT) | instid1(VALU_DEP_1)
	v_mul_hi_u32 v8, v10, v8
	v_mul_lo_u32 v8, v8, v0
	s_delay_alu instid0(VALU_DEP_1) | instskip(NEXT) | instid1(VALU_DEP_1)
	v_sub_nc_u32_e32 v8, v10, v8
	v_sub_nc_u32_e32 v10, v8, v0
	v_cmp_ge_u32_e32 vcc_lo, v8, v0
	s_delay_alu instid0(VALU_DEP_2) | instskip(SKIP_1) | instid1(VALU_DEP_2)
	v_cndmask_b32_e32 v8, v8, v10, vcc_lo
	v_add_nc_u32_e32 v10, -1, v0
	v_add_nc_u32_e32 v12, v8, v36
	v_cmp_ge_u32_e32 vcc_lo, v8, v0
	s_delay_alu instid0(VALU_DEP_2) | instskip(NEXT) | instid1(VALU_DEP_1)
	v_cndmask_b32_e32 v8, v8, v12, vcc_lo
	v_cmpx_ne_u32_e64 v10, v8
	s_cbranch_execz .LBB1_15
; %bb.19:                               ;   in Loop: Header=BB1_16 Depth=1
	v_lshlrev_b64 v[37:38], 2, v[8:9]
	s_delay_alu instid0(VALU_DEP_1) | instskip(NEXT) | instid1(VALU_DEP_2)
	v_add_co_u32 v37, vcc_lo, v11, v37
	v_add_co_ci_u32_e32 v38, vcc_lo, v35, v38, vcc_lo
	global_load_b32 v0, v[37:38], off
	global_load_b32 v8, v[3:4], off
	s_waitcnt vmcnt(1)
	global_store_b32 v[3:4], v0, off
	s_waitcnt vmcnt(0)
	global_store_b32 v[37:38], v8, off
	s_branch .LBB1_15
.LBB1_20:
	s_nop 0
	s_sendmsg sendmsg(MSG_DEALLOC_VGPRS)
	s_endpgm
	.section	.rodata,"a",@progbits
	.p2align	6, 0x0
	.amdhsa_kernel _ZN12_GLOBAL__N_137randperm_handle_duplicate_keys_kernelIiN2at6native12_GLOBAL__N_110OpaqueTypeILi4EEEEEvPT_PT0_S6_iNS1_15PhiloxCudaStateE
		.amdhsa_group_segment_fixed_size 0
		.amdhsa_private_segment_fixed_size 0
		.amdhsa_kernarg_size 312
		.amdhsa_user_sgpr_count 15
		.amdhsa_user_sgpr_dispatch_ptr 0
		.amdhsa_user_sgpr_queue_ptr 0
		.amdhsa_user_sgpr_kernarg_segment_ptr 1
		.amdhsa_user_sgpr_dispatch_id 0
		.amdhsa_user_sgpr_private_segment_size 0
		.amdhsa_wavefront_size32 1
		.amdhsa_uses_dynamic_stack 0
		.amdhsa_enable_private_segment 0
		.amdhsa_system_sgpr_workgroup_id_x 1
		.amdhsa_system_sgpr_workgroup_id_y 0
		.amdhsa_system_sgpr_workgroup_id_z 0
		.amdhsa_system_sgpr_workgroup_info 0
		.amdhsa_system_vgpr_workitem_id 0
		.amdhsa_next_free_vgpr 47
		.amdhsa_next_free_sgpr 19
		.amdhsa_reserve_vcc 1
		.amdhsa_float_round_mode_32 0
		.amdhsa_float_round_mode_16_64 0
		.amdhsa_float_denorm_mode_32 3
		.amdhsa_float_denorm_mode_16_64 3
		.amdhsa_dx10_clamp 1
		.amdhsa_ieee_mode 1
		.amdhsa_fp16_overflow 0
		.amdhsa_workgroup_processor_mode 1
		.amdhsa_memory_ordered 1
		.amdhsa_forward_progress 0
		.amdhsa_shared_vgpr_count 0
		.amdhsa_exception_fp_ieee_invalid_op 0
		.amdhsa_exception_fp_denorm_src 0
		.amdhsa_exception_fp_ieee_div_zero 0
		.amdhsa_exception_fp_ieee_overflow 0
		.amdhsa_exception_fp_ieee_underflow 0
		.amdhsa_exception_fp_ieee_inexact 0
		.amdhsa_exception_int_div_zero 0
	.end_amdhsa_kernel
	.section	.text._ZN12_GLOBAL__N_137randperm_handle_duplicate_keys_kernelIiN2at6native12_GLOBAL__N_110OpaqueTypeILi4EEEEEvPT_PT0_S6_iNS1_15PhiloxCudaStateE,"axG",@progbits,_ZN12_GLOBAL__N_137randperm_handle_duplicate_keys_kernelIiN2at6native12_GLOBAL__N_110OpaqueTypeILi4EEEEEvPT_PT0_S6_iNS1_15PhiloxCudaStateE,comdat
.Lfunc_end1:
	.size	_ZN12_GLOBAL__N_137randperm_handle_duplicate_keys_kernelIiN2at6native12_GLOBAL__N_110OpaqueTypeILi4EEEEEvPT_PT0_S6_iNS1_15PhiloxCudaStateE, .Lfunc_end1-_ZN12_GLOBAL__N_137randperm_handle_duplicate_keys_kernelIiN2at6native12_GLOBAL__N_110OpaqueTypeILi4EEEEEvPT_PT0_S6_iNS1_15PhiloxCudaStateE
                                        ; -- End function
	.section	.AMDGPU.csdata,"",@progbits
; Kernel info:
; codeLenInByte = 2200
; NumSgprs: 21
; NumVgprs: 47
; ScratchSize: 0
; MemoryBound: 0
; FloatMode: 240
; IeeeMode: 1
; LDSByteSize: 0 bytes/workgroup (compile time only)
; SGPRBlocks: 2
; VGPRBlocks: 5
; NumSGPRsForWavesPerEU: 21
; NumVGPRsForWavesPerEU: 47
; Occupancy: 16
; WaveLimiterHint : 0
; COMPUTE_PGM_RSRC2:SCRATCH_EN: 0
; COMPUTE_PGM_RSRC2:USER_SGPR: 15
; COMPUTE_PGM_RSRC2:TRAP_HANDLER: 0
; COMPUTE_PGM_RSRC2:TGID_X_EN: 1
; COMPUTE_PGM_RSRC2:TGID_Y_EN: 0
; COMPUTE_PGM_RSRC2:TGID_Z_EN: 0
; COMPUTE_PGM_RSRC2:TIDIG_COMP_CNT: 0
	.section	.text._ZN12_GLOBAL__N_137randperm_handle_duplicate_keys_kernelIiN2at6native12_GLOBAL__N_110OpaqueTypeILi8EEEEEvPT_PT0_S6_iNS1_15PhiloxCudaStateE,"axG",@progbits,_ZN12_GLOBAL__N_137randperm_handle_duplicate_keys_kernelIiN2at6native12_GLOBAL__N_110OpaqueTypeILi8EEEEEvPT_PT0_S6_iNS1_15PhiloxCudaStateE,comdat
	.globl	_ZN12_GLOBAL__N_137randperm_handle_duplicate_keys_kernelIiN2at6native12_GLOBAL__N_110OpaqueTypeILi8EEEEEvPT_PT0_S6_iNS1_15PhiloxCudaStateE ; -- Begin function _ZN12_GLOBAL__N_137randperm_handle_duplicate_keys_kernelIiN2at6native12_GLOBAL__N_110OpaqueTypeILi8EEEEEvPT_PT0_S6_iNS1_15PhiloxCudaStateE
	.p2align	8
	.type	_ZN12_GLOBAL__N_137randperm_handle_duplicate_keys_kernelIiN2at6native12_GLOBAL__N_110OpaqueTypeILi8EEEEEvPT_PT0_S6_iNS1_15PhiloxCudaStateE,@function
_ZN12_GLOBAL__N_137randperm_handle_duplicate_keys_kernelIiN2at6native12_GLOBAL__N_110OpaqueTypeILi8EEEEEvPT_PT0_S6_iNS1_15PhiloxCudaStateE: ; @_ZN12_GLOBAL__N_137randperm_handle_duplicate_keys_kernelIiN2at6native12_GLOBAL__N_110OpaqueTypeILi8EEEEEvPT_PT0_S6_iNS1_15PhiloxCudaStateE
; %bb.0:
	s_clause 0x1
	s_load_b32 s4, s[0:1], 0x44
	s_load_b64 s[2:3], s[0:1], 0x10
	s_waitcnt lgkmcnt(0)
	s_and_b32 s4, s4, 0xffff
	s_delay_alu instid0(SALU_CYCLE_1)
	v_mad_u64_u32 v[1:2], null, s15, s4, v[0:1]
	s_add_i32 s4, s3, -1
	s_delay_alu instid0(VALU_DEP_1) | instid1(SALU_CYCLE_1)
	v_cmp_gt_i32_e32 vcc_lo, s4, v1
	s_and_saveexec_b32 s4, vcc_lo
	s_cbranch_execz .LBB2_20
; %bb.1:
	s_load_b128 s[4:7], s[0:1], 0x0
	v_ashrrev_i32_e32 v2, 31, v1
	s_delay_alu instid0(VALU_DEP_1) | instskip(SKIP_1) | instid1(VALU_DEP_1)
	v_lshlrev_b64 v[3:4], 2, v[1:2]
	s_waitcnt lgkmcnt(0)
	v_add_co_u32 v3, vcc_lo, s4, v3
	s_delay_alu instid0(VALU_DEP_2) | instskip(SKIP_4) | instid1(VALU_DEP_1)
	v_add_co_ci_u32_e32 v4, vcc_lo, s5, v4, vcc_lo
	global_load_b64 v[5:6], v[3:4], off
	s_waitcnt vmcnt(0)
	v_and_b32_e32 v0, s2, v5
	v_and_b32_e32 v6, s2, v6
	v_cmp_eq_u32_e32 vcc_lo, v0, v6
	s_and_b32 exec_lo, exec_lo, vcc_lo
	s_cbranch_execz .LBB2_20
; %bb.2:
	v_cmp_eq_u32_e64 s4, 0, v1
	s_mov_b32 s5, exec_lo
	v_cmpx_ne_u32_e32 0, v1
	s_cbranch_execz .LBB2_4
; %bb.3:
	global_load_b32 v6, v[3:4], off offset:-4
	s_and_not1_b32 s4, s4, exec_lo
	s_waitcnt vmcnt(0)
	v_and_b32_e32 v6, s2, v6
	s_delay_alu instid0(VALU_DEP_1) | instskip(SKIP_1) | instid1(SALU_CYCLE_1)
	v_cmp_ne_u32_e32 vcc_lo, v0, v6
	s_and_b32 s8, vcc_lo, exec_lo
	s_or_b32 s4, s4, s8
.LBB2_4:
	s_or_b32 exec_lo, exec_lo, s5
	s_delay_alu instid0(SALU_CYCLE_1)
	s_and_b32 exec_lo, exec_lo, s4
	s_cbranch_execz .LBB2_20
; %bb.5:
	s_clause 0x2
	s_load_b128 s[8:11], s[0:1], 0x18
	s_load_b64 s[4:5], s[0:1], 0x28
	s_load_b32 s1, s[0:1], 0x30
	v_lshlrev_b64 v[7:8], 3, v[1:2]
	v_add_co_u32 v9, vcc_lo, v3, 4
	v_add_co_ci_u32_e32 v10, vcc_lo, 0, v4, vcc_lo
	s_mov_b32 s16, 1
	s_delay_alu instid0(VALU_DEP_3) | instskip(NEXT) | instid1(VALU_DEP_4)
	v_add_co_u32 v11, vcc_lo, s6, v7
	v_add_co_ci_u32_e32 v12, vcc_lo, s7, v8, vcc_lo
	s_mov_b32 s13, 0
                                        ; implicit-def: $sgpr12
                                        ; implicit-def: $sgpr15
                                        ; implicit-def: $sgpr14
	s_set_inst_prefetch_distance 0x1
	s_branch .LBB2_7
	.p2align	6
.LBB2_6:                                ;   in Loop: Header=BB2_7 Depth=1
	s_or_b32 exec_lo, exec_lo, s18
	s_delay_alu instid0(SALU_CYCLE_1)
	s_and_b32 s0, exec_lo, s15
	v_mov_b32_e32 v0, s16
	s_or_b32 s13, s0, s13
	s_and_not1_b32 s0, s12, exec_lo
	s_and_b32 s12, s14, exec_lo
	s_mov_b32 s16, s17
	s_or_b32 s12, s0, s12
	s_and_not1_b32 exec_lo, exec_lo, s13
	s_cbranch_execz .LBB2_9
.LBB2_7:                                ; =>This Inner Loop Header: Depth=1
	v_dual_mov_b32 v3, v11 :: v_dual_add_nc_u32 v0, s16, v1
	v_mov_b32_e32 v4, v12
	s_or_b32 s14, s14, exec_lo
	s_or_b32 s15, s15, exec_lo
	s_mov_b32 s18, exec_lo
                                        ; implicit-def: $sgpr17
                                        ; implicit-def: $vgpr11_vgpr12
	v_cmpx_gt_i32_e64 s3, v0
	s_cbranch_execz .LBB2_6
; %bb.8:                                ;   in Loop: Header=BB2_7 Depth=1
	global_load_b32 v0, v[9:10], off
	v_add_co_u32 v11, vcc_lo, v3, 8
	v_add_co_ci_u32_e32 v12, vcc_lo, 0, v4, vcc_lo
	v_add_co_u32 v9, s0, v9, 4
	s_delay_alu instid0(VALU_DEP_1)
	v_add_co_ci_u32_e64 v10, s0, 0, v10, s0
	s_and_not1_b32 s0, s15, exec_lo
	s_add_i32 s17, s16, 1
	s_and_not1_b32 s14, s14, exec_lo
	s_waitcnt vmcnt(0)
	v_xor_b32_e32 v0, v0, v5
	s_delay_alu instid0(VALU_DEP_1) | instskip(NEXT) | instid1(VALU_DEP_1)
	v_and_b32_e32 v0, s2, v0
	v_cmp_ne_u32_e32 vcc_lo, 0, v0
	s_and_b32 s15, vcc_lo, exec_lo
	s_delay_alu instid0(SALU_CYCLE_1)
	s_or_b32 s15, s0, s15
	s_branch .LBB2_6
.LBB2_9:
	s_set_inst_prefetch_distance 0x2
	s_or_b32 exec_lo, exec_lo, s13
	v_add_nc_u32_e32 v9, -1, v0
	s_xor_b32 s0, s12, -1
	s_delay_alu instid0(SALU_CYCLE_1) | instskip(NEXT) | instid1(SALU_CYCLE_1)
	s_and_saveexec_b32 s2, s0
	s_xor_b32 s0, exec_lo, s2
; %bb.10:
	v_add_nc_u32_e32 v9, -1, v0
; %bb.11:
	s_and_not1_saveexec_b32 s0, s0
	s_delay_alu instid0(SALU_CYCLE_1)
	s_or_b32 exec_lo, exec_lo, s0
	s_waitcnt lgkmcnt(0)
	v_dual_mov_b32 v15, s11 :: v_dual_mov_b32 v14, s10
	v_dual_mov_b32 v5, s8 :: v_dual_mov_b32 v6, s9
	s_bitcmp0_b32 s1, 0
	s_cbranch_scc1 .LBB2_13
; %bb.12:
	v_dual_mov_b32 v5, s10 :: v_dual_mov_b32 v6, s11
	flat_load_b64 v[10:11], v[5:6]
	v_dual_mov_b32 v5, s8 :: v_dual_mov_b32 v6, s9
	flat_load_b64 v[5:6], v[5:6]
	s_waitcnt vmcnt(1) lgkmcnt(1)
	v_add_co_u32 v14, vcc_lo, v10, s4
	v_add_co_ci_u32_e32 v15, vcc_lo, s5, v11, vcc_lo
.LBB2_13:
	v_cmp_ne_u32_e32 vcc_lo, 0, v9
	s_and_b32 exec_lo, exec_lo, vcc_lo
	s_cbranch_execz .LBB2_20
; %bb.14:
	s_delay_alu instid0(VALU_DEP_2)
	v_alignbit_b32 v16, v15, v14, 2
	v_mad_u64_u32 v[9:10], null, 0xcd9e8d57, v1, 0
	v_lshrrev_b32_e32 v15, 2, v15
	s_waitcnt vmcnt(0) lgkmcnt(0)
	v_xor_b32_e32 v13, v6, v2
	v_mad_u64_u32 v[11:12], null, 0xd2511f53, v16, 0
	v_mov_b32_e32 v39, v6
	v_add_co_u32 v18, null, 0x9e3779b9, v5
	v_xor3_b32 v10, v10, v5, v15
	v_add_co_u32 v19, null, 0x3c6ef372, v5
	v_xor_b32_e32 v17, v13, v12
	v_add_co_u32 v20, null, 0x76cf5d0a, v39
	s_delay_alu instid0(VALU_DEP_4) | instskip(NEXT) | instid1(VALU_DEP_3)
	v_mad_u64_u32 v[12:13], null, 0xd2511f53, v10, 0
	v_mad_u64_u32 v[21:22], null, 0xcd9e8d57, v17, 0
	v_add_co_u32 v17, null, 0xbb67ae85, v39
	v_add_co_u32 v25, null, 0xa9066899, v39
	v_add_co_u32 v26, null, 0x1715609d, v5
	s_delay_alu instid0(VALU_DEP_3) | instskip(SKIP_3) | instid1(VALU_DEP_3)
	v_xor3_b32 v11, v17, v13, v11
	v_xor3_b32 v13, v18, v22, v9
	v_add_co_u32 v22, null, 0xdaa66d2b, v5
	s_mov_b32 s0, 0
	v_mad_u64_u32 v[9:10], null, 0xcd9e8d57, v11, 0
	s_delay_alu instid0(VALU_DEP_3) | instskip(NEXT) | instid1(VALU_DEP_2)
	v_mad_u64_u32 v[23:24], null, 0xd2511f53, v13, 0
	v_xor3_b32 v13, v19, v10, v21
	s_delay_alu instid0(VALU_DEP_2) | instskip(SKIP_1) | instid1(VALU_DEP_3)
	v_xor3_b32 v21, v20, v24, v12
	v_add_co_u32 v24, null, 0xed9eba14, v39
	v_mad_u64_u32 v[10:11], null, 0xd2511f53, v13, 0
	s_delay_alu instid0(VALU_DEP_3) | instskip(SKIP_1) | instid1(VALU_DEP_1)
	v_mad_u64_u32 v[12:13], null, 0xcd9e8d57, v21, 0
	v_add_co_u32 v21, null, 0x32370b8f, v39
	v_xor3_b32 v11, v21, v11, v23
	s_delay_alu instid0(VALU_DEP_3) | instskip(SKIP_1) | instid1(VALU_DEP_3)
	v_xor3_b32 v9, v22, v13, v9
	v_add_co_u32 v23, null, 0x78dde6e4, v5
	v_mad_u64_u32 v[27:28], null, 0xcd9e8d57, v11, 0
	s_delay_alu instid0(VALU_DEP_3) | instskip(NEXT) | instid1(VALU_DEP_2)
	v_mad_u64_u32 v[29:30], null, 0xd2511f53, v9, 0
	v_xor3_b32 v11, v23, v28, v12
	v_add_co_u32 v28, null, 0x646e171e, v39
	s_delay_alu instid0(VALU_DEP_3) | instskip(SKIP_1) | instid1(VALU_DEP_4)
	v_xor3_b32 v13, v24, v30, v10
	v_add_co_u32 v30, null, 0x5384540f, v5
	v_mad_u64_u32 v[9:10], null, 0xd2511f53, v11, 0
	s_delay_alu instid0(VALU_DEP_3) | instskip(NEXT) | instid1(VALU_DEP_2)
	v_mad_u64_u32 v[11:12], null, 0xcd9e8d57, v13, 0
	v_xor3_b32 v10, v25, v10, v29
	s_delay_alu instid0(VALU_DEP_2) | instskip(NEXT) | instid1(VALU_DEP_2)
	v_xor3_b32 v27, v26, v12, v27
	v_mad_u64_u32 v[12:13], null, 0xcd9e8d57, v10, 0
	s_delay_alu instid0(VALU_DEP_2) | instskip(SKIP_1) | instid1(VALU_DEP_1)
	v_mad_u64_u32 v[31:32], null, 0xd2511f53, v27, 0
	v_add_co_u32 v27, null, 0xb54cda56, v5
	v_xor3_b32 v11, v27, v13, v11
	s_delay_alu instid0(VALU_DEP_3) | instskip(NEXT) | instid1(VALU_DEP_2)
	v_xor3_b32 v13, v28, v32, v9
	v_mad_u64_u32 v[9:10], null, 0xd2511f53, v11, 0
	s_delay_alu instid0(VALU_DEP_2) | instskip(NEXT) | instid1(VALU_DEP_1)
	v_mad_u64_u32 v[33:34], null, 0xcd9e8d57, v13, 0
	v_xor3_b32 v11, v30, v34, v12
	v_add_nc_u32_e32 v34, 0x8ff34781, v5
	v_add_co_u32 v29, null, 0x1fd5c5a3, v39
	v_add_co_u32 v32, null, 0xdb3d7428, v39
	s_delay_alu instid0(VALU_DEP_4) | instskip(NEXT) | instid1(VALU_DEP_3)
	v_mad_u64_u32 v[37:38], null, 0xd2511f53, v11, 0
	v_xor3_b32 v10, v29, v10, v31
	v_add_co_u32 v31, null, 0xf1bbcdc8, v5
	s_delay_alu instid0(VALU_DEP_2) | instskip(NEXT) | instid1(VALU_DEP_4)
	v_mad_u64_u32 v[35:36], null, 0xcd9e8d57, v10, 0
	v_xor3_b32 v9, v32, v38, v9
	s_delay_alu instid0(VALU_DEP_2) | instskip(SKIP_1) | instid1(VALU_DEP_2)
	v_xor3_b32 v12, v31, v36, v33
	v_sub_nc_u32_e32 v36, 0, v0
	v_mad_u64_u32 v[10:11], null, 0xd2511f53, v12, 0
	s_delay_alu instid0(VALU_DEP_4) | instskip(NEXT) | instid1(VALU_DEP_1)
	v_mad_u64_u32 v[12:13], null, 0xcd9e8d57, v9, 0
	v_xor3_b32 v39, v13, v35, v34
	v_add_nc_u32_e32 v33, 0x96a522ad, v6
	s_delay_alu instid0(VALU_DEP_1) | instskip(SKIP_3) | instid1(VALU_DEP_4)
	v_xor3_b32 v38, v11, v37, v33
	v_add_co_u32 v11, vcc_lo, s6, v7
	v_mov_b32_e32 v9, 0
	v_add_co_ci_u32_e32 v35, vcc_lo, s7, v8, vcc_lo
	v_dual_mov_b32 v40, v38 :: v_dual_and_b32 v37, 3, v14
	v_mov_b32_e32 v14, v39
	s_branch .LBB2_16
.LBB2_15:                               ;   in Loop: Header=BB2_16 Depth=1
	s_or_b32 exec_lo, exec_lo, s1
	v_add_co_u32 v3, vcc_lo, v3, -8
	v_add_co_ci_u32_e32 v4, vcc_lo, -1, v4, vcc_lo
	v_cmp_gt_i32_e32 vcc_lo, 2, v10
	v_dual_mov_b32 v37, v41 :: v_dual_add_nc_u32 v36, 1, v36
	v_mov_b32_e32 v0, v10
	v_dual_mov_b32 v39, v14 :: v_dual_mov_b32 v12, v13
	v_mov_b32_e32 v38, v40
	v_mov_b32_e32 v10, v7
	s_or_b32 s0, vcc_lo, s0
	s_delay_alu instid0(SALU_CYCLE_1)
	s_and_not1_b32 exec_lo, exec_lo, s0
	s_cbranch_execz .LBB2_20
.LBB2_16:                               ; =>This Inner Loop Header: Depth=1
	s_delay_alu instid0(VALU_DEP_2) | instskip(SKIP_3) | instid1(VALU_DEP_3)
	v_add_nc_u32_e32 v41, 1, v37
	v_mov_b32_e32 v13, v12
	v_mov_b32_e32 v7, v10
	s_mov_b32 s1, exec_lo
	v_cmpx_eq_u32_e32 4, v41
	s_cbranch_execz .LBB2_18
; %bb.17:                               ;   in Loop: Header=BB2_16 Depth=1
	v_add_co_u32 v16, vcc_lo, v16, 1
	s_delay_alu instid0(VALU_DEP_1) | instskip(SKIP_1) | instid1(VALU_DEP_1)
	v_cndmask_b32_e64 v7, 0, 1, vcc_lo
	v_add_co_ci_u32_e32 v15, vcc_lo, 0, v15, vcc_lo
	v_cmp_eq_u32_e32 vcc_lo, 0, v15
	s_delay_alu instid0(VALU_DEP_3) | instskip(SKIP_1) | instid1(VALU_DEP_2)
	v_cndmask_b32_e32 v13, 0, v7, vcc_lo
	v_mad_u64_u32 v[7:8], null, 0xd2511f53, v16, 0
	v_add_nc_u32_e32 v1, v13, v1
	s_delay_alu instid0(VALU_DEP_2) | instskip(NEXT) | instid1(VALU_DEP_2)
	v_xor_b32_e32 v8, v8, v6
	v_cmp_eq_u32_e32 vcc_lo, 0, v1
	v_cndmask_b32_e32 v40, 0, v13, vcc_lo
	v_mad_u64_u32 v[13:14], null, 0xcd9e8d57, v1, 0
	s_delay_alu instid0(VALU_DEP_2) | instskip(NEXT) | instid1(VALU_DEP_2)
	v_add_nc_u32_e32 v2, v40, v2
	v_xor3_b32 v14, v14, v5, v15
	s_delay_alu instid0(VALU_DEP_2) | instskip(NEXT) | instid1(VALU_DEP_2)
	v_xor_b32_e32 v8, v2, v8
	v_mad_u64_u32 v[40:41], null, 0xd2511f53, v14, 0
	s_delay_alu instid0(VALU_DEP_2) | instskip(NEXT) | instid1(VALU_DEP_2)
	v_mad_u64_u32 v[42:43], null, 0xcd9e8d57, v8, 0
	v_xor3_b32 v14, v17, v41, v7
	s_delay_alu instid0(VALU_DEP_2) | instskip(NEXT) | instid1(VALU_DEP_2)
	v_xor3_b32 v41, v18, v43, v13
	v_mad_u64_u32 v[7:8], null, 0xcd9e8d57, v14, 0
	s_delay_alu instid0(VALU_DEP_2) | instskip(NEXT) | instid1(VALU_DEP_2)
	v_mad_u64_u32 v[13:14], null, 0xd2511f53, v41, 0
	v_xor3_b32 v8, v19, v8, v42
	s_delay_alu instid0(VALU_DEP_2) | instskip(NEXT) | instid1(VALU_DEP_2)
	v_xor3_b32 v14, v20, v14, v40
	;; [unrolled: 6-line block ×6, first 2 shown]
	v_mad_u64_u32 v[40:41], null, 0xd2511f53, v8, 0
	s_delay_alu instid0(VALU_DEP_2) | instskip(NEXT) | instid1(VALU_DEP_2)
	v_mad_u64_u32 v[42:43], null, 0xcd9e8d57, v14, 0
	v_xor3_b32 v8, v29, v41, v13
	v_mov_b32_e32 v41, 0
	s_delay_alu instid0(VALU_DEP_3) | instskip(NEXT) | instid1(VALU_DEP_3)
	v_xor3_b32 v7, v30, v43, v7
	v_mad_u64_u32 v[43:44], null, 0xcd9e8d57, v8, 0
	s_delay_alu instid0(VALU_DEP_2) | instskip(NEXT) | instid1(VALU_DEP_2)
	v_mad_u64_u32 v[45:46], null, 0xd2511f53, v7, 0
	v_xor3_b32 v13, v31, v44, v42
	s_delay_alu instid0(VALU_DEP_2) | instskip(NEXT) | instid1(VALU_DEP_2)
	v_xor3_b32 v40, v32, v46, v40
	v_mad_u64_u32 v[7:8], null, 0xd2511f53, v13, 0
	s_delay_alu instid0(VALU_DEP_2) | instskip(NEXT) | instid1(VALU_DEP_2)
	v_mad_u64_u32 v[13:14], null, 0xcd9e8d57, v40, 0
	v_xor3_b32 v40, v8, v45, v33
	s_delay_alu instid0(VALU_DEP_2)
	v_xor3_b32 v14, v14, v43, v34
.LBB2_18:                               ;   in Loop: Header=BB2_16 Depth=1
	s_or_b32 exec_lo, exec_lo, s1
	v_cvt_f32_u32_e32 v8, v0
	v_cmp_eq_u32_e32 vcc_lo, 1, v37
	s_mov_b32 s1, exec_lo
	s_delay_alu instid0(VALU_DEP_2) | instskip(SKIP_2) | instid1(VALU_DEP_2)
	v_rcp_iflag_f32_e32 v8, v8
	v_cndmask_b32_e32 v12, v39, v12, vcc_lo
	v_cmp_eq_u32_e32 vcc_lo, 2, v37
	v_cndmask_b32_e32 v12, v12, v38, vcc_lo
	v_cmp_eq_u32_e32 vcc_lo, 3, v37
	s_waitcnt_depctr 0xfff
	v_mul_f32_e32 v8, 0x4f7ffffe, v8
	v_cndmask_b32_e32 v10, v12, v10, vcc_lo
	s_delay_alu instid0(VALU_DEP_2) | instskip(NEXT) | instid1(VALU_DEP_1)
	v_cvt_u32_f32_e32 v8, v8
	v_mul_lo_u32 v42, v36, v8
	s_delay_alu instid0(VALU_DEP_1) | instskip(NEXT) | instid1(VALU_DEP_1)
	v_mul_hi_u32 v39, v8, v42
	v_add_nc_u32_e32 v8, v8, v39
	s_delay_alu instid0(VALU_DEP_1) | instskip(NEXT) | instid1(VALU_DEP_1)
	v_mul_hi_u32 v8, v10, v8
	v_mul_lo_u32 v8, v8, v0
	s_delay_alu instid0(VALU_DEP_1) | instskip(NEXT) | instid1(VALU_DEP_1)
	v_sub_nc_u32_e32 v8, v10, v8
	v_sub_nc_u32_e32 v10, v8, v0
	v_cmp_ge_u32_e32 vcc_lo, v8, v0
	s_delay_alu instid0(VALU_DEP_2) | instskip(SKIP_1) | instid1(VALU_DEP_2)
	v_cndmask_b32_e32 v8, v8, v10, vcc_lo
	v_add_nc_u32_e32 v10, -1, v0
	v_add_nc_u32_e32 v12, v8, v36
	v_cmp_ge_u32_e32 vcc_lo, v8, v0
	s_delay_alu instid0(VALU_DEP_2) | instskip(NEXT) | instid1(VALU_DEP_1)
	v_cndmask_b32_e32 v8, v8, v12, vcc_lo
	v_cmpx_ne_u32_e64 v10, v8
	s_cbranch_execz .LBB2_15
; %bb.19:                               ;   in Loop: Header=BB2_16 Depth=1
	v_lshlrev_b64 v[37:38], 3, v[8:9]
	s_delay_alu instid0(VALU_DEP_1) | instskip(NEXT) | instid1(VALU_DEP_2)
	v_add_co_u32 v37, vcc_lo, v11, v37
	v_add_co_ci_u32_e32 v38, vcc_lo, v35, v38, vcc_lo
	global_load_b64 v[42:43], v[37:38], off
	global_load_b64 v[44:45], v[3:4], off
	s_waitcnt vmcnt(1)
	global_store_b64 v[3:4], v[42:43], off
	s_waitcnt vmcnt(0)
	global_store_b64 v[37:38], v[44:45], off
	s_branch .LBB2_15
.LBB2_20:
	s_nop 0
	s_sendmsg sendmsg(MSG_DEALLOC_VGPRS)
	s_endpgm
	.section	.rodata,"a",@progbits
	.p2align	6, 0x0
	.amdhsa_kernel _ZN12_GLOBAL__N_137randperm_handle_duplicate_keys_kernelIiN2at6native12_GLOBAL__N_110OpaqueTypeILi8EEEEEvPT_PT0_S6_iNS1_15PhiloxCudaStateE
		.amdhsa_group_segment_fixed_size 0
		.amdhsa_private_segment_fixed_size 0
		.amdhsa_kernarg_size 312
		.amdhsa_user_sgpr_count 15
		.amdhsa_user_sgpr_dispatch_ptr 0
		.amdhsa_user_sgpr_queue_ptr 0
		.amdhsa_user_sgpr_kernarg_segment_ptr 1
		.amdhsa_user_sgpr_dispatch_id 0
		.amdhsa_user_sgpr_private_segment_size 0
		.amdhsa_wavefront_size32 1
		.amdhsa_uses_dynamic_stack 0
		.amdhsa_enable_private_segment 0
		.amdhsa_system_sgpr_workgroup_id_x 1
		.amdhsa_system_sgpr_workgroup_id_y 0
		.amdhsa_system_sgpr_workgroup_id_z 0
		.amdhsa_system_sgpr_workgroup_info 0
		.amdhsa_system_vgpr_workitem_id 0
		.amdhsa_next_free_vgpr 47
		.amdhsa_next_free_sgpr 19
		.amdhsa_reserve_vcc 1
		.amdhsa_float_round_mode_32 0
		.amdhsa_float_round_mode_16_64 0
		.amdhsa_float_denorm_mode_32 3
		.amdhsa_float_denorm_mode_16_64 3
		.amdhsa_dx10_clamp 1
		.amdhsa_ieee_mode 1
		.amdhsa_fp16_overflow 0
		.amdhsa_workgroup_processor_mode 1
		.amdhsa_memory_ordered 1
		.amdhsa_forward_progress 0
		.amdhsa_shared_vgpr_count 0
		.amdhsa_exception_fp_ieee_invalid_op 0
		.amdhsa_exception_fp_denorm_src 0
		.amdhsa_exception_fp_ieee_div_zero 0
		.amdhsa_exception_fp_ieee_overflow 0
		.amdhsa_exception_fp_ieee_underflow 0
		.amdhsa_exception_fp_ieee_inexact 0
		.amdhsa_exception_int_div_zero 0
	.end_amdhsa_kernel
	.section	.text._ZN12_GLOBAL__N_137randperm_handle_duplicate_keys_kernelIiN2at6native12_GLOBAL__N_110OpaqueTypeILi8EEEEEvPT_PT0_S6_iNS1_15PhiloxCudaStateE,"axG",@progbits,_ZN12_GLOBAL__N_137randperm_handle_duplicate_keys_kernelIiN2at6native12_GLOBAL__N_110OpaqueTypeILi8EEEEEvPT_PT0_S6_iNS1_15PhiloxCudaStateE,comdat
.Lfunc_end2:
	.size	_ZN12_GLOBAL__N_137randperm_handle_duplicate_keys_kernelIiN2at6native12_GLOBAL__N_110OpaqueTypeILi8EEEEEvPT_PT0_S6_iNS1_15PhiloxCudaStateE, .Lfunc_end2-_ZN12_GLOBAL__N_137randperm_handle_duplicate_keys_kernelIiN2at6native12_GLOBAL__N_110OpaqueTypeILi8EEEEEvPT_PT0_S6_iNS1_15PhiloxCudaStateE
                                        ; -- End function
	.section	.AMDGPU.csdata,"",@progbits
; Kernel info:
; codeLenInByte = 2212
; NumSgprs: 21
; NumVgprs: 47
; ScratchSize: 0
; MemoryBound: 1
; FloatMode: 240
; IeeeMode: 1
; LDSByteSize: 0 bytes/workgroup (compile time only)
; SGPRBlocks: 2
; VGPRBlocks: 5
; NumSGPRsForWavesPerEU: 21
; NumVGPRsForWavesPerEU: 47
; Occupancy: 16
; WaveLimiterHint : 0
; COMPUTE_PGM_RSRC2:SCRATCH_EN: 0
; COMPUTE_PGM_RSRC2:USER_SGPR: 15
; COMPUTE_PGM_RSRC2:TRAP_HANDLER: 0
; COMPUTE_PGM_RSRC2:TGID_X_EN: 1
; COMPUTE_PGM_RSRC2:TGID_Y_EN: 0
; COMPUTE_PGM_RSRC2:TGID_Z_EN: 0
; COMPUTE_PGM_RSRC2:TIDIG_COMP_CNT: 0
	.section	.text._ZN12_GLOBAL__N_137randperm_handle_duplicate_keys_kernelIiN2at6native12_GLOBAL__N_110OpaqueTypeILi2EEEEEvPT_PT0_S6_iNS1_15PhiloxCudaStateE,"axG",@progbits,_ZN12_GLOBAL__N_137randperm_handle_duplicate_keys_kernelIiN2at6native12_GLOBAL__N_110OpaqueTypeILi2EEEEEvPT_PT0_S6_iNS1_15PhiloxCudaStateE,comdat
	.globl	_ZN12_GLOBAL__N_137randperm_handle_duplicate_keys_kernelIiN2at6native12_GLOBAL__N_110OpaqueTypeILi2EEEEEvPT_PT0_S6_iNS1_15PhiloxCudaStateE ; -- Begin function _ZN12_GLOBAL__N_137randperm_handle_duplicate_keys_kernelIiN2at6native12_GLOBAL__N_110OpaqueTypeILi2EEEEEvPT_PT0_S6_iNS1_15PhiloxCudaStateE
	.p2align	8
	.type	_ZN12_GLOBAL__N_137randperm_handle_duplicate_keys_kernelIiN2at6native12_GLOBAL__N_110OpaqueTypeILi2EEEEEvPT_PT0_S6_iNS1_15PhiloxCudaStateE,@function
_ZN12_GLOBAL__N_137randperm_handle_duplicate_keys_kernelIiN2at6native12_GLOBAL__N_110OpaqueTypeILi2EEEEEvPT_PT0_S6_iNS1_15PhiloxCudaStateE: ; @_ZN12_GLOBAL__N_137randperm_handle_duplicate_keys_kernelIiN2at6native12_GLOBAL__N_110OpaqueTypeILi2EEEEEvPT_PT0_S6_iNS1_15PhiloxCudaStateE
; %bb.0:
	s_clause 0x1
	s_load_b32 s4, s[0:1], 0x44
	s_load_b64 s[2:3], s[0:1], 0x10
	s_waitcnt lgkmcnt(0)
	s_and_b32 s4, s4, 0xffff
	s_delay_alu instid0(SALU_CYCLE_1)
	v_mad_u64_u32 v[1:2], null, s15, s4, v[0:1]
	s_add_i32 s4, s3, -1
	s_delay_alu instid0(VALU_DEP_1) | instid1(SALU_CYCLE_1)
	v_cmp_gt_i32_e32 vcc_lo, s4, v1
	s_and_saveexec_b32 s4, vcc_lo
	s_cbranch_execz .LBB3_20
; %bb.1:
	s_load_b128 s[4:7], s[0:1], 0x0
	v_ashrrev_i32_e32 v2, 31, v1
	s_delay_alu instid0(VALU_DEP_1) | instskip(SKIP_1) | instid1(VALU_DEP_1)
	v_lshlrev_b64 v[3:4], 2, v[1:2]
	s_waitcnt lgkmcnt(0)
	v_add_co_u32 v3, vcc_lo, s4, v3
	s_delay_alu instid0(VALU_DEP_2) | instskip(SKIP_4) | instid1(VALU_DEP_1)
	v_add_co_ci_u32_e32 v4, vcc_lo, s5, v4, vcc_lo
	global_load_b64 v[5:6], v[3:4], off
	s_waitcnt vmcnt(0)
	v_and_b32_e32 v0, s2, v5
	v_and_b32_e32 v6, s2, v6
	v_cmp_eq_u32_e32 vcc_lo, v0, v6
	s_and_b32 exec_lo, exec_lo, vcc_lo
	s_cbranch_execz .LBB3_20
; %bb.2:
	v_cmp_eq_u32_e64 s4, 0, v1
	s_mov_b32 s5, exec_lo
	v_cmpx_ne_u32_e32 0, v1
	s_cbranch_execz .LBB3_4
; %bb.3:
	global_load_b32 v6, v[3:4], off offset:-4
	s_and_not1_b32 s4, s4, exec_lo
	s_waitcnt vmcnt(0)
	v_and_b32_e32 v6, s2, v6
	s_delay_alu instid0(VALU_DEP_1) | instskip(SKIP_1) | instid1(SALU_CYCLE_1)
	v_cmp_ne_u32_e32 vcc_lo, v0, v6
	s_and_b32 s8, vcc_lo, exec_lo
	s_or_b32 s4, s4, s8
.LBB3_4:
	s_or_b32 exec_lo, exec_lo, s5
	s_delay_alu instid0(SALU_CYCLE_1)
	s_and_b32 exec_lo, exec_lo, s4
	s_cbranch_execz .LBB3_20
; %bb.5:
	s_clause 0x2
	s_load_b128 s[8:11], s[0:1], 0x18
	s_load_b64 s[4:5], s[0:1], 0x28
	s_load_b32 s1, s[0:1], 0x30
	v_lshlrev_b64 v[7:8], 1, v[1:2]
	v_add_co_u32 v9, vcc_lo, v3, 4
	v_add_co_ci_u32_e32 v10, vcc_lo, 0, v4, vcc_lo
	s_mov_b32 s16, 1
	s_delay_alu instid0(VALU_DEP_3) | instskip(NEXT) | instid1(VALU_DEP_4)
	v_add_co_u32 v11, vcc_lo, s6, v7
	v_add_co_ci_u32_e32 v12, vcc_lo, s7, v8, vcc_lo
	s_mov_b32 s13, 0
                                        ; implicit-def: $sgpr12
                                        ; implicit-def: $sgpr15
                                        ; implicit-def: $sgpr14
	s_set_inst_prefetch_distance 0x1
	s_branch .LBB3_7
	.p2align	6
.LBB3_6:                                ;   in Loop: Header=BB3_7 Depth=1
	s_or_b32 exec_lo, exec_lo, s18
	s_delay_alu instid0(SALU_CYCLE_1)
	s_and_b32 s0, exec_lo, s15
	v_mov_b32_e32 v0, s16
	s_or_b32 s13, s0, s13
	s_and_not1_b32 s0, s12, exec_lo
	s_and_b32 s12, s14, exec_lo
	s_mov_b32 s16, s17
	s_or_b32 s12, s0, s12
	s_and_not1_b32 exec_lo, exec_lo, s13
	s_cbranch_execz .LBB3_9
.LBB3_7:                                ; =>This Inner Loop Header: Depth=1
	v_dual_mov_b32 v3, v11 :: v_dual_add_nc_u32 v0, s16, v1
	v_mov_b32_e32 v4, v12
	s_or_b32 s14, s14, exec_lo
	s_or_b32 s15, s15, exec_lo
	s_mov_b32 s18, exec_lo
                                        ; implicit-def: $sgpr17
                                        ; implicit-def: $vgpr11_vgpr12
	v_cmpx_gt_i32_e64 s3, v0
	s_cbranch_execz .LBB3_6
; %bb.8:                                ;   in Loop: Header=BB3_7 Depth=1
	global_load_b32 v0, v[9:10], off
	v_add_co_u32 v11, vcc_lo, v3, 2
	v_add_co_ci_u32_e32 v12, vcc_lo, 0, v4, vcc_lo
	v_add_co_u32 v9, s0, v9, 4
	s_delay_alu instid0(VALU_DEP_1)
	v_add_co_ci_u32_e64 v10, s0, 0, v10, s0
	s_and_not1_b32 s0, s15, exec_lo
	s_add_i32 s17, s16, 1
	s_and_not1_b32 s14, s14, exec_lo
	s_waitcnt vmcnt(0)
	v_xor_b32_e32 v0, v0, v5
	s_delay_alu instid0(VALU_DEP_1) | instskip(NEXT) | instid1(VALU_DEP_1)
	v_and_b32_e32 v0, s2, v0
	v_cmp_ne_u32_e32 vcc_lo, 0, v0
	s_and_b32 s15, vcc_lo, exec_lo
	s_delay_alu instid0(SALU_CYCLE_1)
	s_or_b32 s15, s0, s15
	s_branch .LBB3_6
.LBB3_9:
	s_set_inst_prefetch_distance 0x2
	s_or_b32 exec_lo, exec_lo, s13
	v_add_nc_u32_e32 v9, -1, v0
	s_xor_b32 s0, s12, -1
	s_delay_alu instid0(SALU_CYCLE_1) | instskip(NEXT) | instid1(SALU_CYCLE_1)
	s_and_saveexec_b32 s2, s0
	s_xor_b32 s0, exec_lo, s2
; %bb.10:
	v_add_nc_u32_e32 v9, -1, v0
; %bb.11:
	s_and_not1_saveexec_b32 s0, s0
	s_delay_alu instid0(SALU_CYCLE_1)
	s_or_b32 exec_lo, exec_lo, s0
	s_waitcnt lgkmcnt(0)
	v_dual_mov_b32 v15, s11 :: v_dual_mov_b32 v14, s10
	v_dual_mov_b32 v5, s8 :: v_dual_mov_b32 v6, s9
	s_bitcmp0_b32 s1, 0
	s_cbranch_scc1 .LBB3_13
; %bb.12:
	v_dual_mov_b32 v5, s10 :: v_dual_mov_b32 v6, s11
	flat_load_b64 v[10:11], v[5:6]
	v_dual_mov_b32 v5, s8 :: v_dual_mov_b32 v6, s9
	flat_load_b64 v[5:6], v[5:6]
	s_waitcnt vmcnt(1) lgkmcnt(1)
	v_add_co_u32 v14, vcc_lo, v10, s4
	v_add_co_ci_u32_e32 v15, vcc_lo, s5, v11, vcc_lo
.LBB3_13:
	v_cmp_ne_u32_e32 vcc_lo, 0, v9
	s_and_b32 exec_lo, exec_lo, vcc_lo
	s_cbranch_execz .LBB3_20
; %bb.14:
	s_delay_alu instid0(VALU_DEP_2)
	v_alignbit_b32 v16, v15, v14, 2
	v_mad_u64_u32 v[9:10], null, 0xcd9e8d57, v1, 0
	v_lshrrev_b32_e32 v15, 2, v15
	s_waitcnt vmcnt(0) lgkmcnt(0)
	v_xor_b32_e32 v13, v6, v2
	v_mad_u64_u32 v[11:12], null, 0xd2511f53, v16, 0
	v_mov_b32_e32 v39, v6
	v_add_co_u32 v18, null, 0x9e3779b9, v5
	v_xor3_b32 v10, v10, v5, v15
	v_add_co_u32 v19, null, 0x3c6ef372, v5
	v_xor_b32_e32 v17, v13, v12
	v_add_co_u32 v20, null, 0x76cf5d0a, v39
	s_delay_alu instid0(VALU_DEP_4) | instskip(NEXT) | instid1(VALU_DEP_3)
	v_mad_u64_u32 v[12:13], null, 0xd2511f53, v10, 0
	v_mad_u64_u32 v[21:22], null, 0xcd9e8d57, v17, 0
	v_add_co_u32 v17, null, 0xbb67ae85, v39
	v_add_co_u32 v25, null, 0xa9066899, v39
	;; [unrolled: 1-line block ×3, first 2 shown]
	s_delay_alu instid0(VALU_DEP_3) | instskip(SKIP_3) | instid1(VALU_DEP_3)
	v_xor3_b32 v11, v17, v13, v11
	v_xor3_b32 v13, v18, v22, v9
	v_add_co_u32 v22, null, 0xdaa66d2b, v5
	s_mov_b32 s0, 0
	v_mad_u64_u32 v[9:10], null, 0xcd9e8d57, v11, 0
	s_delay_alu instid0(VALU_DEP_3) | instskip(NEXT) | instid1(VALU_DEP_2)
	v_mad_u64_u32 v[23:24], null, 0xd2511f53, v13, 0
	v_xor3_b32 v13, v19, v10, v21
	s_delay_alu instid0(VALU_DEP_2) | instskip(SKIP_1) | instid1(VALU_DEP_3)
	v_xor3_b32 v21, v20, v24, v12
	v_add_co_u32 v24, null, 0xed9eba14, v39
	v_mad_u64_u32 v[10:11], null, 0xd2511f53, v13, 0
	s_delay_alu instid0(VALU_DEP_3) | instskip(SKIP_1) | instid1(VALU_DEP_1)
	v_mad_u64_u32 v[12:13], null, 0xcd9e8d57, v21, 0
	v_add_co_u32 v21, null, 0x32370b8f, v39
	v_xor3_b32 v11, v21, v11, v23
	s_delay_alu instid0(VALU_DEP_3) | instskip(SKIP_1) | instid1(VALU_DEP_3)
	v_xor3_b32 v9, v22, v13, v9
	v_add_co_u32 v23, null, 0x78dde6e4, v5
	v_mad_u64_u32 v[27:28], null, 0xcd9e8d57, v11, 0
	s_delay_alu instid0(VALU_DEP_3) | instskip(NEXT) | instid1(VALU_DEP_2)
	v_mad_u64_u32 v[29:30], null, 0xd2511f53, v9, 0
	v_xor3_b32 v11, v23, v28, v12
	v_add_co_u32 v28, null, 0x646e171e, v39
	s_delay_alu instid0(VALU_DEP_3) | instskip(SKIP_1) | instid1(VALU_DEP_4)
	v_xor3_b32 v13, v24, v30, v10
	v_add_co_u32 v30, null, 0x5384540f, v5
	v_mad_u64_u32 v[9:10], null, 0xd2511f53, v11, 0
	s_delay_alu instid0(VALU_DEP_3) | instskip(NEXT) | instid1(VALU_DEP_2)
	v_mad_u64_u32 v[11:12], null, 0xcd9e8d57, v13, 0
	v_xor3_b32 v10, v25, v10, v29
	s_delay_alu instid0(VALU_DEP_2) | instskip(NEXT) | instid1(VALU_DEP_2)
	v_xor3_b32 v27, v26, v12, v27
	v_mad_u64_u32 v[12:13], null, 0xcd9e8d57, v10, 0
	s_delay_alu instid0(VALU_DEP_2) | instskip(SKIP_1) | instid1(VALU_DEP_1)
	v_mad_u64_u32 v[31:32], null, 0xd2511f53, v27, 0
	v_add_co_u32 v27, null, 0xb54cda56, v5
	v_xor3_b32 v11, v27, v13, v11
	s_delay_alu instid0(VALU_DEP_3) | instskip(NEXT) | instid1(VALU_DEP_2)
	v_xor3_b32 v13, v28, v32, v9
	v_mad_u64_u32 v[9:10], null, 0xd2511f53, v11, 0
	s_delay_alu instid0(VALU_DEP_2) | instskip(NEXT) | instid1(VALU_DEP_1)
	v_mad_u64_u32 v[33:34], null, 0xcd9e8d57, v13, 0
	v_xor3_b32 v11, v30, v34, v12
	v_add_nc_u32_e32 v34, 0x8ff34781, v5
	v_add_co_u32 v29, null, 0x1fd5c5a3, v39
	v_add_co_u32 v32, null, 0xdb3d7428, v39
	s_delay_alu instid0(VALU_DEP_4) | instskip(NEXT) | instid1(VALU_DEP_3)
	v_mad_u64_u32 v[37:38], null, 0xd2511f53, v11, 0
	v_xor3_b32 v10, v29, v10, v31
	v_add_co_u32 v31, null, 0xf1bbcdc8, v5
	s_delay_alu instid0(VALU_DEP_2) | instskip(NEXT) | instid1(VALU_DEP_4)
	v_mad_u64_u32 v[35:36], null, 0xcd9e8d57, v10, 0
	v_xor3_b32 v9, v32, v38, v9
	s_delay_alu instid0(VALU_DEP_2) | instskip(SKIP_1) | instid1(VALU_DEP_2)
	v_xor3_b32 v12, v31, v36, v33
	v_sub_nc_u32_e32 v36, 0, v0
	v_mad_u64_u32 v[10:11], null, 0xd2511f53, v12, 0
	s_delay_alu instid0(VALU_DEP_4) | instskip(NEXT) | instid1(VALU_DEP_1)
	v_mad_u64_u32 v[12:13], null, 0xcd9e8d57, v9, 0
	v_xor3_b32 v39, v13, v35, v34
	v_add_nc_u32_e32 v33, 0x96a522ad, v6
	s_delay_alu instid0(VALU_DEP_1) | instskip(SKIP_3) | instid1(VALU_DEP_4)
	v_xor3_b32 v38, v11, v37, v33
	v_add_co_u32 v11, vcc_lo, s6, v7
	v_mov_b32_e32 v9, 0
	v_add_co_ci_u32_e32 v35, vcc_lo, s7, v8, vcc_lo
	v_dual_mov_b32 v40, v38 :: v_dual_and_b32 v37, 3, v14
	v_mov_b32_e32 v14, v39
	s_branch .LBB3_16
.LBB3_15:                               ;   in Loop: Header=BB3_16 Depth=1
	s_or_b32 exec_lo, exec_lo, s1
	v_add_co_u32 v3, vcc_lo, v3, -2
	v_add_co_ci_u32_e32 v4, vcc_lo, -1, v4, vcc_lo
	v_cmp_gt_i32_e32 vcc_lo, 2, v10
	v_dual_mov_b32 v37, v41 :: v_dual_add_nc_u32 v36, 1, v36
	v_mov_b32_e32 v0, v10
	v_dual_mov_b32 v39, v14 :: v_dual_mov_b32 v12, v13
	v_mov_b32_e32 v38, v40
	v_mov_b32_e32 v10, v7
	s_or_b32 s0, vcc_lo, s0
	s_delay_alu instid0(SALU_CYCLE_1)
	s_and_not1_b32 exec_lo, exec_lo, s0
	s_cbranch_execz .LBB3_20
.LBB3_16:                               ; =>This Inner Loop Header: Depth=1
	s_delay_alu instid0(VALU_DEP_2) | instskip(SKIP_3) | instid1(VALU_DEP_3)
	v_add_nc_u32_e32 v41, 1, v37
	v_mov_b32_e32 v13, v12
	v_mov_b32_e32 v7, v10
	s_mov_b32 s1, exec_lo
	v_cmpx_eq_u32_e32 4, v41
	s_cbranch_execz .LBB3_18
; %bb.17:                               ;   in Loop: Header=BB3_16 Depth=1
	v_add_co_u32 v16, vcc_lo, v16, 1
	s_delay_alu instid0(VALU_DEP_1) | instskip(SKIP_1) | instid1(VALU_DEP_1)
	v_cndmask_b32_e64 v7, 0, 1, vcc_lo
	v_add_co_ci_u32_e32 v15, vcc_lo, 0, v15, vcc_lo
	v_cmp_eq_u32_e32 vcc_lo, 0, v15
	s_delay_alu instid0(VALU_DEP_3) | instskip(SKIP_1) | instid1(VALU_DEP_2)
	v_cndmask_b32_e32 v13, 0, v7, vcc_lo
	v_mad_u64_u32 v[7:8], null, 0xd2511f53, v16, 0
	v_add_nc_u32_e32 v1, v13, v1
	s_delay_alu instid0(VALU_DEP_2) | instskip(NEXT) | instid1(VALU_DEP_2)
	v_xor_b32_e32 v8, v8, v6
	v_cmp_eq_u32_e32 vcc_lo, 0, v1
	v_cndmask_b32_e32 v40, 0, v13, vcc_lo
	v_mad_u64_u32 v[13:14], null, 0xcd9e8d57, v1, 0
	s_delay_alu instid0(VALU_DEP_2) | instskip(NEXT) | instid1(VALU_DEP_2)
	v_add_nc_u32_e32 v2, v40, v2
	v_xor3_b32 v14, v14, v5, v15
	s_delay_alu instid0(VALU_DEP_2) | instskip(NEXT) | instid1(VALU_DEP_2)
	v_xor_b32_e32 v8, v2, v8
	v_mad_u64_u32 v[40:41], null, 0xd2511f53, v14, 0
	s_delay_alu instid0(VALU_DEP_2) | instskip(NEXT) | instid1(VALU_DEP_2)
	v_mad_u64_u32 v[42:43], null, 0xcd9e8d57, v8, 0
	v_xor3_b32 v14, v17, v41, v7
	s_delay_alu instid0(VALU_DEP_2) | instskip(NEXT) | instid1(VALU_DEP_2)
	v_xor3_b32 v41, v18, v43, v13
	v_mad_u64_u32 v[7:8], null, 0xcd9e8d57, v14, 0
	s_delay_alu instid0(VALU_DEP_2) | instskip(NEXT) | instid1(VALU_DEP_2)
	v_mad_u64_u32 v[13:14], null, 0xd2511f53, v41, 0
	v_xor3_b32 v8, v19, v8, v42
	s_delay_alu instid0(VALU_DEP_2) | instskip(NEXT) | instid1(VALU_DEP_2)
	v_xor3_b32 v14, v20, v14, v40
	;; [unrolled: 6-line block ×6, first 2 shown]
	v_mad_u64_u32 v[40:41], null, 0xd2511f53, v8, 0
	s_delay_alu instid0(VALU_DEP_2) | instskip(NEXT) | instid1(VALU_DEP_2)
	v_mad_u64_u32 v[42:43], null, 0xcd9e8d57, v14, 0
	v_xor3_b32 v8, v29, v41, v13
	v_mov_b32_e32 v41, 0
	s_delay_alu instid0(VALU_DEP_3) | instskip(NEXT) | instid1(VALU_DEP_3)
	v_xor3_b32 v7, v30, v43, v7
	v_mad_u64_u32 v[43:44], null, 0xcd9e8d57, v8, 0
	s_delay_alu instid0(VALU_DEP_2) | instskip(NEXT) | instid1(VALU_DEP_2)
	v_mad_u64_u32 v[45:46], null, 0xd2511f53, v7, 0
	v_xor3_b32 v13, v31, v44, v42
	s_delay_alu instid0(VALU_DEP_2) | instskip(NEXT) | instid1(VALU_DEP_2)
	v_xor3_b32 v40, v32, v46, v40
	v_mad_u64_u32 v[7:8], null, 0xd2511f53, v13, 0
	s_delay_alu instid0(VALU_DEP_2) | instskip(NEXT) | instid1(VALU_DEP_2)
	v_mad_u64_u32 v[13:14], null, 0xcd9e8d57, v40, 0
	v_xor3_b32 v40, v8, v45, v33
	s_delay_alu instid0(VALU_DEP_2)
	v_xor3_b32 v14, v14, v43, v34
.LBB3_18:                               ;   in Loop: Header=BB3_16 Depth=1
	s_or_b32 exec_lo, exec_lo, s1
	v_cvt_f32_u32_e32 v8, v0
	v_cmp_eq_u32_e32 vcc_lo, 1, v37
	s_mov_b32 s1, exec_lo
	s_delay_alu instid0(VALU_DEP_2) | instskip(SKIP_2) | instid1(VALU_DEP_2)
	v_rcp_iflag_f32_e32 v8, v8
	v_cndmask_b32_e32 v12, v39, v12, vcc_lo
	v_cmp_eq_u32_e32 vcc_lo, 2, v37
	v_cndmask_b32_e32 v12, v12, v38, vcc_lo
	v_cmp_eq_u32_e32 vcc_lo, 3, v37
	s_waitcnt_depctr 0xfff
	v_mul_f32_e32 v8, 0x4f7ffffe, v8
	v_cndmask_b32_e32 v10, v12, v10, vcc_lo
	s_delay_alu instid0(VALU_DEP_2) | instskip(NEXT) | instid1(VALU_DEP_1)
	v_cvt_u32_f32_e32 v8, v8
	v_mul_lo_u32 v42, v36, v8
	s_delay_alu instid0(VALU_DEP_1) | instskip(NEXT) | instid1(VALU_DEP_1)
	v_mul_hi_u32 v39, v8, v42
	v_add_nc_u32_e32 v8, v8, v39
	s_delay_alu instid0(VALU_DEP_1) | instskip(NEXT) | instid1(VALU_DEP_1)
	v_mul_hi_u32 v8, v10, v8
	v_mul_lo_u32 v8, v8, v0
	s_delay_alu instid0(VALU_DEP_1) | instskip(NEXT) | instid1(VALU_DEP_1)
	v_sub_nc_u32_e32 v8, v10, v8
	v_sub_nc_u32_e32 v10, v8, v0
	v_cmp_ge_u32_e32 vcc_lo, v8, v0
	s_delay_alu instid0(VALU_DEP_2) | instskip(SKIP_1) | instid1(VALU_DEP_2)
	v_cndmask_b32_e32 v8, v8, v10, vcc_lo
	v_add_nc_u32_e32 v10, -1, v0
	v_add_nc_u32_e32 v12, v8, v36
	v_cmp_ge_u32_e32 vcc_lo, v8, v0
	s_delay_alu instid0(VALU_DEP_2) | instskip(NEXT) | instid1(VALU_DEP_1)
	v_cndmask_b32_e32 v8, v8, v12, vcc_lo
	v_cmpx_ne_u32_e64 v10, v8
	s_cbranch_execz .LBB3_15
; %bb.19:                               ;   in Loop: Header=BB3_16 Depth=1
	v_lshlrev_b64 v[37:38], 1, v[8:9]
	s_delay_alu instid0(VALU_DEP_1) | instskip(NEXT) | instid1(VALU_DEP_2)
	v_add_co_u32 v37, vcc_lo, v11, v37
	v_add_co_ci_u32_e32 v38, vcc_lo, v35, v38, vcc_lo
	global_load_u16 v0, v[37:38], off
	global_load_u16 v8, v[3:4], off
	s_waitcnt vmcnt(1)
	global_store_b16 v[3:4], v0, off
	s_waitcnt vmcnt(0)
	global_store_b16 v[37:38], v8, off
	s_branch .LBB3_15
.LBB3_20:
	s_nop 0
	s_sendmsg sendmsg(MSG_DEALLOC_VGPRS)
	s_endpgm
	.section	.rodata,"a",@progbits
	.p2align	6, 0x0
	.amdhsa_kernel _ZN12_GLOBAL__N_137randperm_handle_duplicate_keys_kernelIiN2at6native12_GLOBAL__N_110OpaqueTypeILi2EEEEEvPT_PT0_S6_iNS1_15PhiloxCudaStateE
		.amdhsa_group_segment_fixed_size 0
		.amdhsa_private_segment_fixed_size 0
		.amdhsa_kernarg_size 312
		.amdhsa_user_sgpr_count 15
		.amdhsa_user_sgpr_dispatch_ptr 0
		.amdhsa_user_sgpr_queue_ptr 0
		.amdhsa_user_sgpr_kernarg_segment_ptr 1
		.amdhsa_user_sgpr_dispatch_id 0
		.amdhsa_user_sgpr_private_segment_size 0
		.amdhsa_wavefront_size32 1
		.amdhsa_uses_dynamic_stack 0
		.amdhsa_enable_private_segment 0
		.amdhsa_system_sgpr_workgroup_id_x 1
		.amdhsa_system_sgpr_workgroup_id_y 0
		.amdhsa_system_sgpr_workgroup_id_z 0
		.amdhsa_system_sgpr_workgroup_info 0
		.amdhsa_system_vgpr_workitem_id 0
		.amdhsa_next_free_vgpr 47
		.amdhsa_next_free_sgpr 19
		.amdhsa_reserve_vcc 1
		.amdhsa_float_round_mode_32 0
		.amdhsa_float_round_mode_16_64 0
		.amdhsa_float_denorm_mode_32 3
		.amdhsa_float_denorm_mode_16_64 3
		.amdhsa_dx10_clamp 1
		.amdhsa_ieee_mode 1
		.amdhsa_fp16_overflow 0
		.amdhsa_workgroup_processor_mode 1
		.amdhsa_memory_ordered 1
		.amdhsa_forward_progress 0
		.amdhsa_shared_vgpr_count 0
		.amdhsa_exception_fp_ieee_invalid_op 0
		.amdhsa_exception_fp_denorm_src 0
		.amdhsa_exception_fp_ieee_div_zero 0
		.amdhsa_exception_fp_ieee_overflow 0
		.amdhsa_exception_fp_ieee_underflow 0
		.amdhsa_exception_fp_ieee_inexact 0
		.amdhsa_exception_int_div_zero 0
	.end_amdhsa_kernel
	.section	.text._ZN12_GLOBAL__N_137randperm_handle_duplicate_keys_kernelIiN2at6native12_GLOBAL__N_110OpaqueTypeILi2EEEEEvPT_PT0_S6_iNS1_15PhiloxCudaStateE,"axG",@progbits,_ZN12_GLOBAL__N_137randperm_handle_duplicate_keys_kernelIiN2at6native12_GLOBAL__N_110OpaqueTypeILi2EEEEEvPT_PT0_S6_iNS1_15PhiloxCudaStateE,comdat
.Lfunc_end3:
	.size	_ZN12_GLOBAL__N_137randperm_handle_duplicate_keys_kernelIiN2at6native12_GLOBAL__N_110OpaqueTypeILi2EEEEEvPT_PT0_S6_iNS1_15PhiloxCudaStateE, .Lfunc_end3-_ZN12_GLOBAL__N_137randperm_handle_duplicate_keys_kernelIiN2at6native12_GLOBAL__N_110OpaqueTypeILi2EEEEEvPT_PT0_S6_iNS1_15PhiloxCudaStateE
                                        ; -- End function
	.section	.AMDGPU.csdata,"",@progbits
; Kernel info:
; codeLenInByte = 2212
; NumSgprs: 21
; NumVgprs: 47
; ScratchSize: 0
; MemoryBound: 0
; FloatMode: 240
; IeeeMode: 1
; LDSByteSize: 0 bytes/workgroup (compile time only)
; SGPRBlocks: 2
; VGPRBlocks: 5
; NumSGPRsForWavesPerEU: 21
; NumVGPRsForWavesPerEU: 47
; Occupancy: 16
; WaveLimiterHint : 0
; COMPUTE_PGM_RSRC2:SCRATCH_EN: 0
; COMPUTE_PGM_RSRC2:USER_SGPR: 15
; COMPUTE_PGM_RSRC2:TRAP_HANDLER: 0
; COMPUTE_PGM_RSRC2:TGID_X_EN: 1
; COMPUTE_PGM_RSRC2:TGID_Y_EN: 0
; COMPUTE_PGM_RSRC2:TGID_Z_EN: 0
; COMPUTE_PGM_RSRC2:TIDIG_COMP_CNT: 0
	.section	.text._ZN12_GLOBAL__N_137randperm_handle_duplicate_keys_kernelIlN2at6native12_GLOBAL__N_110OpaqueTypeILi1EEEEEvPT_PT0_S6_iNS1_15PhiloxCudaStateE,"axG",@progbits,_ZN12_GLOBAL__N_137randperm_handle_duplicate_keys_kernelIlN2at6native12_GLOBAL__N_110OpaqueTypeILi1EEEEEvPT_PT0_S6_iNS1_15PhiloxCudaStateE,comdat
	.globl	_ZN12_GLOBAL__N_137randperm_handle_duplicate_keys_kernelIlN2at6native12_GLOBAL__N_110OpaqueTypeILi1EEEEEvPT_PT0_S6_iNS1_15PhiloxCudaStateE ; -- Begin function _ZN12_GLOBAL__N_137randperm_handle_duplicate_keys_kernelIlN2at6native12_GLOBAL__N_110OpaqueTypeILi1EEEEEvPT_PT0_S6_iNS1_15PhiloxCudaStateE
	.p2align	8
	.type	_ZN12_GLOBAL__N_137randperm_handle_duplicate_keys_kernelIlN2at6native12_GLOBAL__N_110OpaqueTypeILi1EEEEEvPT_PT0_S6_iNS1_15PhiloxCudaStateE,@function
_ZN12_GLOBAL__N_137randperm_handle_duplicate_keys_kernelIlN2at6native12_GLOBAL__N_110OpaqueTypeILi1EEEEEvPT_PT0_S6_iNS1_15PhiloxCudaStateE: ; @_ZN12_GLOBAL__N_137randperm_handle_duplicate_keys_kernelIlN2at6native12_GLOBAL__N_110OpaqueTypeILi1EEEEEvPT_PT0_S6_iNS1_15PhiloxCudaStateE
; %bb.0:
	s_clause 0x1
	s_load_b32 s2, s[0:1], 0x4c
	s_load_b32 s16, s[0:1], 0x18
	s_waitcnt lgkmcnt(0)
	s_and_b32 s2, s2, 0xffff
	s_delay_alu instid0(SALU_CYCLE_1)
	v_mad_u64_u32 v[4:5], null, s15, s2, v[0:1]
	s_add_i32 s2, s16, -1
	s_delay_alu instid0(VALU_DEP_1) | instid1(SALU_CYCLE_1)
	v_cmp_gt_i32_e32 vcc_lo, s2, v4
	s_and_saveexec_b32 s2, vcc_lo
	s_cbranch_execz .LBB4_18
; %bb.1:
	s_clause 0x1
	s_load_b128 s[4:7], s[0:1], 0x0
	s_load_b64 s[2:3], s[0:1], 0x10
	v_ashrrev_i32_e32 v5, 31, v4
	s_delay_alu instid0(VALU_DEP_1) | instskip(SKIP_1) | instid1(VALU_DEP_1)
	v_lshlrev_b64 v[0:1], 3, v[4:5]
	s_waitcnt lgkmcnt(0)
	v_add_co_u32 v6, vcc_lo, s4, v0
	s_delay_alu instid0(VALU_DEP_2)
	v_add_co_ci_u32_e32 v7, vcc_lo, s5, v1, vcc_lo
	global_load_b128 v[0:3], v[6:7], off
	s_waitcnt vmcnt(0)
	v_and_b32_e32 v9, s3, v1
	v_and_b32_e32 v8, s2, v0
	;; [unrolled: 1-line block ×4, first 2 shown]
	s_delay_alu instid0(VALU_DEP_1)
	v_cmp_eq_u64_e32 vcc_lo, v[8:9], v[2:3]
	s_and_b32 exec_lo, exec_lo, vcc_lo
	s_cbranch_execz .LBB4_18
; %bb.2:
	v_cmp_eq_u32_e64 s4, 0, v4
	s_mov_b32 s5, exec_lo
	v_cmpx_ne_u32_e32 0, v4
	s_cbranch_execz .LBB4_4
; %bb.3:
	global_load_b64 v[2:3], v[6:7], off offset:-8
	s_and_not1_b32 s4, s4, exec_lo
	s_waitcnt vmcnt(0)
	v_and_b32_e32 v3, s3, v3
	v_and_b32_e32 v2, s2, v2
	s_delay_alu instid0(VALU_DEP_1) | instskip(SKIP_1) | instid1(SALU_CYCLE_1)
	v_cmp_ne_u64_e32 vcc_lo, v[8:9], v[2:3]
	s_and_b32 s8, vcc_lo, exec_lo
	s_or_b32 s4, s4, s8
.LBB4_4:
	s_or_b32 exec_lo, exec_lo, s5
	s_delay_alu instid0(SALU_CYCLE_1)
	s_and_b32 exec_lo, exec_lo, s4
	s_cbranch_execz .LBB4_18
; %bb.5:
	s_clause 0x2
	s_load_b128 s[8:11], s[0:1], 0x20
	s_load_b64 s[4:5], s[0:1], 0x30
	s_load_b32 s1, s[0:1], 0x38
	v_add_co_u32 v6, vcc_lo, v6, 8
	v_add_co_ci_u32_e32 v7, vcc_lo, 0, v7, vcc_lo
	v_add_nc_u32_e32 v8, 1, v4
	s_mov_b64 s[12:13], 0
	s_mov_b32 s17, 0
                                        ; implicit-def: $sgpr18
                                        ; implicit-def: $sgpr20
                                        ; implicit-def: $sgpr19
	s_set_inst_prefetch_distance 0x1
	s_branch .LBB4_7
	.p2align	6
.LBB4_6:                                ;   in Loop: Header=BB4_7 Depth=1
	s_or_b32 exec_lo, exec_lo, s21
	s_delay_alu instid0(SALU_CYCLE_1) | instskip(SKIP_4) | instid1(SALU_CYCLE_1)
	s_and_b32 s0, exec_lo, s20
	v_dual_mov_b32 v2, s12 :: v_dual_mov_b32 v3, s13
	s_or_b32 s17, s0, s17
	s_and_not1_b32 s0, s18, exec_lo
	s_and_b32 s12, s19, exec_lo
	s_or_b32 s18, s0, s12
	s_mov_b64 s[12:13], s[14:15]
	s_and_not1_b32 exec_lo, exec_lo, s17
	s_cbranch_execz .LBB4_9
.LBB4_7:                                ; =>This Inner Loop Header: Depth=1
	v_add_nc_u32_e32 v2, s12, v8
	s_or_b32 s19, s19, exec_lo
	s_or_b32 s20, s20, exec_lo
	s_mov_b32 s21, exec_lo
                                        ; implicit-def: $sgpr14_sgpr15
	s_delay_alu instid0(VALU_DEP_1)
	v_cmpx_gt_i32_e64 s16, v2
	s_cbranch_execz .LBB4_6
; %bb.8:                                ;   in Loop: Header=BB4_7 Depth=1
	global_load_b64 v[2:3], v[6:7], off
	v_add_co_u32 v6, s0, v6, 8
	s_add_u32 s14, s12, 1
	v_add_co_ci_u32_e64 v7, s0, 0, v7, s0
	s_addc_u32 s15, s13, 0
	s_and_not1_b32 s0, s20, exec_lo
	s_and_not1_b32 s19, s19, exec_lo
	s_waitcnt vmcnt(0)
	v_xor_b32_e32 v3, v3, v1
	v_xor_b32_e32 v2, v2, v0
	s_delay_alu instid0(VALU_DEP_2) | instskip(NEXT) | instid1(VALU_DEP_2)
	v_and_b32_e32 v3, s3, v3
	v_and_b32_e32 v2, s2, v2
	s_delay_alu instid0(VALU_DEP_1) | instskip(SKIP_1) | instid1(SALU_CYCLE_1)
	v_cmp_ne_u64_e32 vcc_lo, 0, v[2:3]
	s_and_b32 s20, vcc_lo, exec_lo
	s_or_b32 s20, s0, s20
	s_branch .LBB4_6
.LBB4_9:
	s_set_inst_prefetch_distance 0x2
	s_or_b32 exec_lo, exec_lo, s17
	s_xor_b32 s0, s18, -1
	s_delay_alu instid0(SALU_CYCLE_1) | instskip(NEXT) | instid1(SALU_CYCLE_1)
	s_and_saveexec_b32 s2, s0
	s_xor_b32 s0, exec_lo, s2
	s_delay_alu instid0(SALU_CYCLE_1) | instskip(NEXT) | instid1(SALU_CYCLE_1)
	s_and_not1_saveexec_b32 s0, s0
	s_or_b32 exec_lo, exec_lo, s0
	s_waitcnt lgkmcnt(0)
	v_dual_mov_b32 v10, s10 :: v_dual_mov_b32 v11, s11
	v_dual_mov_b32 v0, s8 :: v_dual_mov_b32 v1, s9
	s_bitcmp0_b32 s1, 0
	s_cbranch_scc1 .LBB4_11
; %bb.10:
	v_dual_mov_b32 v0, s10 :: v_dual_mov_b32 v1, s11
	flat_load_b64 v[6:7], v[0:1]
	v_dual_mov_b32 v0, s8 :: v_dual_mov_b32 v1, s9
	flat_load_b64 v[0:1], v[0:1]
	s_waitcnt vmcnt(1) lgkmcnt(1)
	v_add_co_u32 v10, vcc_lo, v6, s4
	v_add_co_ci_u32_e32 v11, vcc_lo, s5, v7, vcc_lo
.LBB4_11:
	v_cmp_ne_u32_e32 vcc_lo, 0, v2
	s_and_b32 exec_lo, exec_lo, vcc_lo
	s_cbranch_execz .LBB4_18
; %bb.12:
	s_delay_alu instid0(VALU_DEP_2)
	v_alignbit_b32 v13, v11, v10, 2
	v_mad_u64_u32 v[6:7], null, 0xcd9e8d57, v4, 0
	v_lshrrev_b32_e32 v14, 2, v11
	s_waitcnt vmcnt(0) lgkmcnt(0)
	v_xor_b32_e32 v11, v1, v5
	v_mad_u64_u32 v[8:9], null, 0xd2511f53, v13, 0
	v_mov_b32_e32 v30, v1
	v_add_co_u32 v16, null, 0x9e3779b9, v0
	v_xor3_b32 v7, v7, v0, v14
	v_add_co_u32 v17, null, 0x3c6ef372, v0
	v_xor_b32_e32 v9, v11, v9
	v_add_co_u32 v15, null, 0xbb67ae85, v30
	s_delay_alu instid0(VALU_DEP_4) | instskip(NEXT) | instid1(VALU_DEP_3)
	v_mad_u64_u32 v[11:12], null, 0xd2511f53, v7, 0
	v_mad_u64_u32 v[19:20], null, 0xcd9e8d57, v9, 0
	v_add_co_u32 v18, null, 0x76cf5d0a, v30
	v_add_co_u32 v21, null, 0x78dde6e4, v0
	s_delay_alu instid0(VALU_DEP_4) | instskip(SKIP_3) | instid1(VALU_DEP_4)
	v_xor3_b32 v8, v15, v12, v8
	v_add_co_u32 v22, null, 0xed9eba14, v30
	v_xor3_b32 v12, v16, v20, v6
	v_add_co_u32 v20, null, 0xdaa66d2b, v0
	v_mad_u64_u32 v[6:7], null, 0xcd9e8d57, v8, 0
	s_delay_alu instid0(VALU_DEP_3) | instskip(SKIP_2) | instid1(VALU_DEP_4)
	v_mad_u64_u32 v[8:9], null, 0xd2511f53, v12, 0
	v_add_co_u32 v25, null, 0xb54cda56, v0
	v_add_co_u32 v26, null, 0x646e171e, v30
	v_xor3_b32 v7, v17, v7, v19
	v_add_co_u32 v19, null, 0x32370b8f, v30
	v_xor3_b32 v9, v18, v9, v11
	v_add_co_u32 v29, null, 0xf1bbcdc8, v0
	s_delay_alu instid0(VALU_DEP_4) | instskip(NEXT) | instid1(VALU_DEP_3)
	v_mad_u64_u32 v[11:12], null, 0xd2511f53, v7, 0
	v_mad_u64_u32 v[23:24], null, 0xcd9e8d57, v9, 0
	s_mov_b32 s0, 0
	s_delay_alu instid0(VALU_DEP_2) | instskip(NEXT) | instid1(VALU_DEP_2)
	v_xor3_b32 v8, v19, v12, v8
	v_xor3_b32 v12, v20, v24, v6
	v_add_co_u32 v24, null, 0x1715609d, v0
	s_delay_alu instid0(VALU_DEP_3) | instskip(NEXT) | instid1(VALU_DEP_3)
	v_mad_u64_u32 v[6:7], null, 0xcd9e8d57, v8, 0
	v_mad_u64_u32 v[8:9], null, 0xd2511f53, v12, 0
	s_delay_alu instid0(VALU_DEP_2) | instskip(SKIP_1) | instid1(VALU_DEP_3)
	v_xor3_b32 v7, v21, v7, v23
	v_add_co_u32 v23, null, 0xa9066899, v30
	v_xor3_b32 v9, v22, v9, v11
	s_delay_alu instid0(VALU_DEP_3) | instskip(NEXT) | instid1(VALU_DEP_2)
	v_mad_u64_u32 v[11:12], null, 0xd2511f53, v7, 0
	v_mad_u64_u32 v[27:28], null, 0xcd9e8d57, v9, 0
	s_delay_alu instid0(VALU_DEP_2) | instskip(NEXT) | instid1(VALU_DEP_2)
	v_xor3_b32 v8, v23, v12, v8
	v_xor3_b32 v12, v24, v28, v6
	v_add_co_u32 v28, null, 0x5384540f, v0
	s_delay_alu instid0(VALU_DEP_3) | instskip(NEXT) | instid1(VALU_DEP_3)
	v_mad_u64_u32 v[6:7], null, 0xcd9e8d57, v8, 0
	v_mad_u64_u32 v[8:9], null, 0xd2511f53, v12, 0
	s_delay_alu instid0(VALU_DEP_2) | instskip(SKIP_1) | instid1(VALU_DEP_3)
	v_xor3_b32 v7, v25, v7, v27
	v_add_co_u32 v27, null, 0x1fd5c5a3, v30
	v_xor3_b32 v9, v26, v9, v11
	s_delay_alu instid0(VALU_DEP_3) | instskip(NEXT) | instid1(VALU_DEP_2)
	v_mad_u64_u32 v[11:12], null, 0xd2511f53, v7, 0
	v_mad_u64_u32 v[31:32], null, 0xcd9e8d57, v9, 0
	s_delay_alu instid0(VALU_DEP_2) | instskip(NEXT) | instid1(VALU_DEP_2)
	v_xor3_b32 v7, v27, v12, v8
	v_xor3_b32 v6, v28, v32, v6
	v_add_nc_u32_e32 v32, 0x8ff34781, v0
	s_delay_alu instid0(VALU_DEP_3) | instskip(NEXT) | instid1(VALU_DEP_3)
	v_mad_u64_u32 v[33:34], null, 0xcd9e8d57, v7, 0
	v_mad_u64_u32 v[35:36], null, 0xd2511f53, v6, 0
	s_delay_alu instid0(VALU_DEP_2) | instskip(SKIP_3) | instid1(VALU_DEP_4)
	v_xor3_b32 v8, v29, v34, v31
	v_add_nc_u32_e32 v31, 0x96a522ad, v1
	v_add_co_u32 v30, null, 0xdb3d7428, v30
	v_not_b32_e32 v34, v2
	v_mad_u64_u32 v[6:7], null, 0xd2511f53, v8, 0
	s_delay_alu instid0(VALU_DEP_3) | instskip(NEXT) | instid1(VALU_DEP_1)
	v_xor3_b32 v11, v30, v36, v11
	v_mad_u64_u32 v[8:9], null, 0xcd9e8d57, v11, 0
	s_delay_alu instid0(VALU_DEP_3) | instskip(SKIP_1) | instid1(VALU_DEP_2)
	v_xor3_b32 v36, v7, v35, v31
	v_add_co_u32 v7, vcc_lo, s6, v4
	v_mov_b32_e32 v38, v36
	s_delay_alu instid0(VALU_DEP_4) | instskip(SKIP_1) | instid1(VALU_DEP_2)
	v_xor3_b32 v37, v9, v33, v32
	v_add_co_ci_u32_e32 v33, vcc_lo, s7, v5, vcc_lo
	v_dual_mov_b32 v10, v37 :: v_dual_and_b32 v35, 3, v10
	s_branch .LBB4_14
.LBB4_13:                               ;   in Loop: Header=BB4_14 Depth=1
	s_or_b32 exec_lo, exec_lo, s1
	v_add_co_u32 v35, vcc_lo, v2, -1
	v_add_co_ci_u32_e32 v36, vcc_lo, -1, v3, vcc_lo
	v_cmp_gt_i32_e32 vcc_lo, 2, v2
	s_delay_alu instid0(VALU_DEP_3) | instskip(NEXT) | instid1(VALU_DEP_3)
	v_mov_b32_e32 v2, v35
	v_dual_mov_b32 v3, v36 :: v_dual_add_nc_u32 v34, 1, v34
	v_mov_b32_e32 v35, v12
	v_dual_mov_b32 v37, v10 :: v_dual_mov_b32 v8, v11
	v_mov_b32_e32 v36, v38
	v_mov_b32_e32 v6, v9
	s_or_b32 s0, vcc_lo, s0
	s_delay_alu instid0(SALU_CYCLE_1)
	s_and_not1_b32 exec_lo, exec_lo, s0
	s_cbranch_execz .LBB4_18
.LBB4_14:                               ; =>This Inner Loop Header: Depth=1
	s_delay_alu instid0(VALU_DEP_1) | instskip(SKIP_2) | instid1(VALU_DEP_2)
	v_dual_mov_b32 v11, v8 :: v_dual_add_nc_u32 v12, 1, v35
	v_mov_b32_e32 v9, v6
	s_mov_b32 s1, exec_lo
	v_cmpx_eq_u32_e32 4, v12
	s_cbranch_execz .LBB4_16
; %bb.15:                               ;   in Loop: Header=BB4_14 Depth=1
	v_add_co_u32 v13, vcc_lo, v13, 1
	s_delay_alu instid0(VALU_DEP_1) | instskip(SKIP_1) | instid1(VALU_DEP_1)
	v_cndmask_b32_e64 v9, 0, 1, vcc_lo
	v_add_co_ci_u32_e32 v14, vcc_lo, 0, v14, vcc_lo
	v_cmp_eq_u32_e32 vcc_lo, 0, v14
	s_delay_alu instid0(VALU_DEP_3) | instskip(SKIP_1) | instid1(VALU_DEP_2)
	v_cndmask_b32_e32 v11, 0, v9, vcc_lo
	v_mad_u64_u32 v[9:10], null, 0xd2511f53, v13, 0
	v_add_nc_u32_e32 v4, v11, v4
	s_delay_alu instid0(VALU_DEP_2) | instskip(NEXT) | instid1(VALU_DEP_2)
	v_xor_b32_e32 v10, v10, v1
	v_cmp_eq_u32_e32 vcc_lo, 0, v4
	v_cndmask_b32_e32 v38, 0, v11, vcc_lo
	v_mad_u64_u32 v[11:12], null, 0xcd9e8d57, v4, 0
	s_delay_alu instid0(VALU_DEP_2) | instskip(NEXT) | instid1(VALU_DEP_2)
	v_add_nc_u32_e32 v5, v38, v5
	v_xor3_b32 v12, v12, v0, v14
	s_delay_alu instid0(VALU_DEP_2) | instskip(NEXT) | instid1(VALU_DEP_2)
	v_xor_b32_e32 v10, v5, v10
	v_mad_u64_u32 v[38:39], null, 0xd2511f53, v12, 0
	s_delay_alu instid0(VALU_DEP_2) | instskip(NEXT) | instid1(VALU_DEP_2)
	v_mad_u64_u32 v[40:41], null, 0xcd9e8d57, v10, 0
	v_xor3_b32 v12, v15, v39, v9
	s_delay_alu instid0(VALU_DEP_2) | instskip(NEXT) | instid1(VALU_DEP_2)
	v_xor3_b32 v39, v16, v41, v11
	v_mad_u64_u32 v[9:10], null, 0xcd9e8d57, v12, 0
	s_delay_alu instid0(VALU_DEP_2) | instskip(NEXT) | instid1(VALU_DEP_2)
	v_mad_u64_u32 v[11:12], null, 0xd2511f53, v39, 0
	v_xor3_b32 v10, v17, v10, v40
	s_delay_alu instid0(VALU_DEP_2) | instskip(NEXT) | instid1(VALU_DEP_2)
	v_xor3_b32 v12, v18, v12, v38
	;; [unrolled: 6-line block ×8, first 2 shown]
	v_mad_u64_u32 v[9:10], null, 0xd2511f53, v11, 0
	s_delay_alu instid0(VALU_DEP_2) | instskip(NEXT) | instid1(VALU_DEP_2)
	v_mad_u64_u32 v[11:12], null, 0xcd9e8d57, v38, 0
	v_xor3_b32 v38, v10, v43, v31
	s_delay_alu instid0(VALU_DEP_2)
	v_xor3_b32 v10, v12, v41, v32
	v_mov_b32_e32 v12, 0
.LBB4_16:                               ;   in Loop: Header=BB4_14 Depth=1
	s_or_b32 exec_lo, exec_lo, s1
	v_add_nc_u32_e32 v39, 1, v2
	v_cmp_eq_u32_e32 vcc_lo, 1, v35
	s_mov_b32 s1, exec_lo
	s_delay_alu instid0(VALU_DEP_2) | instskip(SKIP_2) | instid1(VALU_DEP_3)
	v_cvt_f32_u32_e32 v40, v39
	v_cndmask_b32_e32 v8, v37, v8, vcc_lo
	v_cmp_eq_u32_e32 vcc_lo, 2, v35
	v_rcp_iflag_f32_e32 v40, v40
	s_delay_alu instid0(VALU_DEP_2) | instskip(SKIP_1) | instid1(VALU_DEP_2)
	v_cndmask_b32_e32 v8, v8, v36, vcc_lo
	v_cmp_eq_u32_e32 vcc_lo, 3, v35
	v_cndmask_b32_e32 v6, v8, v6, vcc_lo
	s_waitcnt_depctr 0xfff
	v_mul_f32_e32 v40, 0x4f7ffffe, v40
	s_delay_alu instid0(VALU_DEP_1) | instskip(NEXT) | instid1(VALU_DEP_1)
	v_cvt_u32_f32_e32 v40, v40
	v_mul_lo_u32 v41, v34, v40
	s_delay_alu instid0(VALU_DEP_1) | instskip(NEXT) | instid1(VALU_DEP_1)
	v_mul_hi_u32 v37, v40, v41
	v_add_nc_u32_e32 v8, v40, v37
	s_delay_alu instid0(VALU_DEP_1) | instskip(NEXT) | instid1(VALU_DEP_1)
	v_mul_hi_u32 v8, v6, v8
	v_mul_lo_u32 v8, v8, v39
	s_delay_alu instid0(VALU_DEP_1) | instskip(NEXT) | instid1(VALU_DEP_1)
	v_sub_nc_u32_e32 v6, v6, v8
	v_sub_nc_u32_e32 v8, v6, v39
	v_cmp_ge_u32_e32 vcc_lo, v6, v39
	s_delay_alu instid0(VALU_DEP_2) | instskip(NEXT) | instid1(VALU_DEP_1)
	v_cndmask_b32_e32 v6, v6, v8, vcc_lo
	v_add_nc_u32_e32 v8, v6, v34
	v_cmp_ge_u32_e32 vcc_lo, v6, v39
	s_delay_alu instid0(VALU_DEP_2) | instskip(NEXT) | instid1(VALU_DEP_1)
	v_cndmask_b32_e32 v6, v6, v8, vcc_lo
	v_cmpx_ne_u32_e64 v2, v6
	s_cbranch_execz .LBB4_13
; %bb.17:                               ;   in Loop: Header=BB4_14 Depth=1
	v_add_co_u32 v35, vcc_lo, v7, v6
	v_add_co_ci_u32_e32 v36, vcc_lo, 0, v33, vcc_lo
	v_add_co_u32 v39, vcc_lo, v7, v2
	v_add_co_ci_u32_e32 v40, vcc_lo, v33, v3, vcc_lo
	s_clause 0x1
	global_load_u8 v6, v[35:36], off
	global_load_u8 v8, v[39:40], off
	s_waitcnt vmcnt(1)
	global_store_b8 v[39:40], v6, off
	s_waitcnt vmcnt(0)
	global_store_b8 v[35:36], v8, off
	s_branch .LBB4_13
.LBB4_18:
	s_nop 0
	s_sendmsg sendmsg(MSG_DEALLOC_VGPRS)
	s_endpgm
	.section	.rodata,"a",@progbits
	.p2align	6, 0x0
	.amdhsa_kernel _ZN12_GLOBAL__N_137randperm_handle_duplicate_keys_kernelIlN2at6native12_GLOBAL__N_110OpaqueTypeILi1EEEEEvPT_PT0_S6_iNS1_15PhiloxCudaStateE
		.amdhsa_group_segment_fixed_size 0
		.amdhsa_private_segment_fixed_size 0
		.amdhsa_kernarg_size 320
		.amdhsa_user_sgpr_count 15
		.amdhsa_user_sgpr_dispatch_ptr 0
		.amdhsa_user_sgpr_queue_ptr 0
		.amdhsa_user_sgpr_kernarg_segment_ptr 1
		.amdhsa_user_sgpr_dispatch_id 0
		.amdhsa_user_sgpr_private_segment_size 0
		.amdhsa_wavefront_size32 1
		.amdhsa_uses_dynamic_stack 0
		.amdhsa_enable_private_segment 0
		.amdhsa_system_sgpr_workgroup_id_x 1
		.amdhsa_system_sgpr_workgroup_id_y 0
		.amdhsa_system_sgpr_workgroup_id_z 0
		.amdhsa_system_sgpr_workgroup_info 0
		.amdhsa_system_vgpr_workitem_id 0
		.amdhsa_next_free_vgpr 45
		.amdhsa_next_free_sgpr 22
		.amdhsa_reserve_vcc 1
		.amdhsa_float_round_mode_32 0
		.amdhsa_float_round_mode_16_64 0
		.amdhsa_float_denorm_mode_32 3
		.amdhsa_float_denorm_mode_16_64 3
		.amdhsa_dx10_clamp 1
		.amdhsa_ieee_mode 1
		.amdhsa_fp16_overflow 0
		.amdhsa_workgroup_processor_mode 1
		.amdhsa_memory_ordered 1
		.amdhsa_forward_progress 0
		.amdhsa_shared_vgpr_count 0
		.amdhsa_exception_fp_ieee_invalid_op 0
		.amdhsa_exception_fp_denorm_src 0
		.amdhsa_exception_fp_ieee_div_zero 0
		.amdhsa_exception_fp_ieee_overflow 0
		.amdhsa_exception_fp_ieee_underflow 0
		.amdhsa_exception_fp_ieee_inexact 0
		.amdhsa_exception_int_div_zero 0
	.end_amdhsa_kernel
	.section	.text._ZN12_GLOBAL__N_137randperm_handle_duplicate_keys_kernelIlN2at6native12_GLOBAL__N_110OpaqueTypeILi1EEEEEvPT_PT0_S6_iNS1_15PhiloxCudaStateE,"axG",@progbits,_ZN12_GLOBAL__N_137randperm_handle_duplicate_keys_kernelIlN2at6native12_GLOBAL__N_110OpaqueTypeILi1EEEEEvPT_PT0_S6_iNS1_15PhiloxCudaStateE,comdat
.Lfunc_end4:
	.size	_ZN12_GLOBAL__N_137randperm_handle_duplicate_keys_kernelIlN2at6native12_GLOBAL__N_110OpaqueTypeILi1EEEEEvPT_PT0_S6_iNS1_15PhiloxCudaStateE, .Lfunc_end4-_ZN12_GLOBAL__N_137randperm_handle_duplicate_keys_kernelIlN2at6native12_GLOBAL__N_110OpaqueTypeILi1EEEEEvPT_PT0_S6_iNS1_15PhiloxCudaStateE
                                        ; -- End function
	.section	.AMDGPU.csdata,"",@progbits
; Kernel info:
; codeLenInByte = 2220
; NumSgprs: 24
; NumVgprs: 45
; ScratchSize: 0
; MemoryBound: 0
; FloatMode: 240
; IeeeMode: 1
; LDSByteSize: 0 bytes/workgroup (compile time only)
; SGPRBlocks: 2
; VGPRBlocks: 5
; NumSGPRsForWavesPerEU: 24
; NumVGPRsForWavesPerEU: 45
; Occupancy: 16
; WaveLimiterHint : 0
; COMPUTE_PGM_RSRC2:SCRATCH_EN: 0
; COMPUTE_PGM_RSRC2:USER_SGPR: 15
; COMPUTE_PGM_RSRC2:TRAP_HANDLER: 0
; COMPUTE_PGM_RSRC2:TGID_X_EN: 1
; COMPUTE_PGM_RSRC2:TGID_Y_EN: 0
; COMPUTE_PGM_RSRC2:TGID_Z_EN: 0
; COMPUTE_PGM_RSRC2:TIDIG_COMP_CNT: 0
	.section	.text._ZN12_GLOBAL__N_137randperm_handle_duplicate_keys_kernelIlN2at6native12_GLOBAL__N_110OpaqueTypeILi4EEEEEvPT_PT0_S6_iNS1_15PhiloxCudaStateE,"axG",@progbits,_ZN12_GLOBAL__N_137randperm_handle_duplicate_keys_kernelIlN2at6native12_GLOBAL__N_110OpaqueTypeILi4EEEEEvPT_PT0_S6_iNS1_15PhiloxCudaStateE,comdat
	.globl	_ZN12_GLOBAL__N_137randperm_handle_duplicate_keys_kernelIlN2at6native12_GLOBAL__N_110OpaqueTypeILi4EEEEEvPT_PT0_S6_iNS1_15PhiloxCudaStateE ; -- Begin function _ZN12_GLOBAL__N_137randperm_handle_duplicate_keys_kernelIlN2at6native12_GLOBAL__N_110OpaqueTypeILi4EEEEEvPT_PT0_S6_iNS1_15PhiloxCudaStateE
	.p2align	8
	.type	_ZN12_GLOBAL__N_137randperm_handle_duplicate_keys_kernelIlN2at6native12_GLOBAL__N_110OpaqueTypeILi4EEEEEvPT_PT0_S6_iNS1_15PhiloxCudaStateE,@function
_ZN12_GLOBAL__N_137randperm_handle_duplicate_keys_kernelIlN2at6native12_GLOBAL__N_110OpaqueTypeILi4EEEEEvPT_PT0_S6_iNS1_15PhiloxCudaStateE: ; @_ZN12_GLOBAL__N_137randperm_handle_duplicate_keys_kernelIlN2at6native12_GLOBAL__N_110OpaqueTypeILi4EEEEEvPT_PT0_S6_iNS1_15PhiloxCudaStateE
; %bb.0:
	s_clause 0x1
	s_load_b32 s2, s[0:1], 0x4c
	s_load_b32 s14, s[0:1], 0x18
	s_waitcnt lgkmcnt(0)
	s_and_b32 s2, s2, 0xffff
	s_delay_alu instid0(SALU_CYCLE_1)
	v_mad_u64_u32 v[4:5], null, s15, s2, v[0:1]
	s_add_i32 s2, s14, -1
	s_delay_alu instid0(VALU_DEP_1) | instid1(SALU_CYCLE_1)
	v_cmp_gt_i32_e32 vcc_lo, s2, v4
	s_and_saveexec_b32 s2, vcc_lo
	s_cbranch_execz .LBB5_20
; %bb.1:
	s_clause 0x1
	s_load_b128 s[4:7], s[0:1], 0x0
	s_load_b64 s[12:13], s[0:1], 0x10
	v_ashrrev_i32_e32 v5, 31, v4
	s_delay_alu instid0(VALU_DEP_1) | instskip(SKIP_1) | instid1(VALU_DEP_1)
	v_lshlrev_b64 v[0:1], 3, v[4:5]
	s_waitcnt lgkmcnt(0)
	v_add_co_u32 v8, vcc_lo, s4, v0
	s_delay_alu instid0(VALU_DEP_2)
	v_add_co_ci_u32_e32 v9, vcc_lo, s5, v1, vcc_lo
	global_load_b128 v[0:3], v[8:9], off
	s_waitcnt vmcnt(0)
	v_and_b32_e32 v7, s13, v1
	v_and_b32_e32 v6, s12, v0
	;; [unrolled: 1-line block ×4, first 2 shown]
	s_delay_alu instid0(VALU_DEP_1)
	v_cmp_eq_u64_e32 vcc_lo, v[6:7], v[2:3]
	s_and_b32 exec_lo, exec_lo, vcc_lo
	s_cbranch_execz .LBB5_20
; %bb.2:
	v_cmp_eq_u32_e64 s2, 0, v4
	s_mov_b32 s3, exec_lo
	v_cmpx_ne_u32_e32 0, v4
	s_cbranch_execz .LBB5_4
; %bb.3:
	global_load_b64 v[2:3], v[8:9], off offset:-8
	s_and_not1_b32 s2, s2, exec_lo
	s_waitcnt vmcnt(0)
	v_and_b32_e32 v3, s13, v3
	v_and_b32_e32 v2, s12, v2
	s_delay_alu instid0(VALU_DEP_1) | instskip(SKIP_1) | instid1(SALU_CYCLE_1)
	v_cmp_ne_u64_e32 vcc_lo, v[6:7], v[2:3]
	s_and_b32 s4, vcc_lo, exec_lo
	s_or_b32 s2, s2, s4
.LBB5_4:
	s_or_b32 exec_lo, exec_lo, s3
	s_delay_alu instid0(SALU_CYCLE_1)
	s_and_b32 exec_lo, exec_lo, s2
	s_cbranch_execz .LBB5_20
; %bb.5:
	s_clause 0x2
	s_load_b128 s[8:11], s[0:1], 0x20
	s_load_b64 s[2:3], s[0:1], 0x30
	s_load_b32 s1, s[0:1], 0x38
	v_lshlrev_b64 v[6:7], 2, v[4:5]
	v_add_co_u32 v8, vcc_lo, v8, 8
	v_add_co_ci_u32_e32 v9, vcc_lo, 0, v9, vcc_lo
	s_mov_b32 s17, 1
	s_delay_alu instid0(VALU_DEP_3) | instskip(NEXT) | instid1(VALU_DEP_4)
	v_add_co_u32 v10, vcc_lo, s6, v6
	v_add_co_ci_u32_e32 v11, vcc_lo, s7, v7, vcc_lo
	s_mov_b32 s5, 0
                                        ; implicit-def: $sgpr4
                                        ; implicit-def: $sgpr16
                                        ; implicit-def: $sgpr15
	s_set_inst_prefetch_distance 0x1
	s_branch .LBB5_7
	.p2align	6
.LBB5_6:                                ;   in Loop: Header=BB5_7 Depth=1
	s_or_b32 exec_lo, exec_lo, s19
	s_delay_alu instid0(SALU_CYCLE_1)
	s_and_b32 s0, exec_lo, s16
	v_mov_b32_e32 v15, s17
	s_or_b32 s5, s0, s5
	s_and_not1_b32 s0, s4, exec_lo
	s_and_b32 s4, s15, exec_lo
	s_mov_b32 s17, s18
	s_or_b32 s4, s0, s4
	s_and_not1_b32 exec_lo, exec_lo, s5
	s_cbranch_execz .LBB5_9
.LBB5_7:                                ; =>This Inner Loop Header: Depth=1
	v_mov_b32_e32 v2, v10
	v_dual_mov_b32 v3, v11 :: v_dual_add_nc_u32 v12, s17, v4
	s_or_b32 s15, s15, exec_lo
	s_or_b32 s16, s16, exec_lo
	s_mov_b32 s19, exec_lo
                                        ; implicit-def: $sgpr18
                                        ; implicit-def: $vgpr10_vgpr11
	s_delay_alu instid0(VALU_DEP_1)
	v_cmpx_gt_i32_e64 s14, v12
	s_cbranch_execz .LBB5_6
; %bb.8:                                ;   in Loop: Header=BB5_7 Depth=1
	global_load_b64 v[10:11], v[8:9], off
	s_add_i32 s18, s17, 1
	s_and_not1_b32 s15, s15, exec_lo
	s_waitcnt vmcnt(0)
	v_xor_b32_e32 v11, v11, v1
	v_xor_b32_e32 v10, v10, v0
	s_delay_alu instid0(VALU_DEP_2) | instskip(NEXT) | instid1(VALU_DEP_2)
	v_and_b32_e32 v11, s13, v11
	v_and_b32_e32 v10, s12, v10
	s_delay_alu instid0(VALU_DEP_1) | instskip(SKIP_1) | instid1(VALU_DEP_1)
	v_cmp_ne_u64_e32 vcc_lo, 0, v[10:11]
	v_add_co_u32 v10, s0, v2, 4
	v_add_co_ci_u32_e64 v11, s0, 0, v3, s0
	v_add_co_u32 v8, s0, v8, 8
	s_delay_alu instid0(VALU_DEP_1) | instskip(SKIP_2) | instid1(SALU_CYCLE_1)
	v_add_co_ci_u32_e64 v9, s0, 0, v9, s0
	s_and_not1_b32 s0, s16, exec_lo
	s_and_b32 s16, vcc_lo, exec_lo
	s_or_b32 s16, s0, s16
	s_branch .LBB5_6
.LBB5_9:
	s_set_inst_prefetch_distance 0x2
	s_or_b32 exec_lo, exec_lo, s5
	v_add_nc_u32_e32 v8, -1, v15
	s_xor_b32 s0, s4, -1
	s_delay_alu instid0(SALU_CYCLE_1) | instskip(NEXT) | instid1(SALU_CYCLE_1)
	s_and_saveexec_b32 s4, s0
	s_xor_b32 s0, exec_lo, s4
; %bb.10:
	v_add_nc_u32_e32 v8, -1, v15
; %bb.11:
	s_and_not1_saveexec_b32 s0, s0
	s_delay_alu instid0(SALU_CYCLE_1)
	s_or_b32 exec_lo, exec_lo, s0
	s_waitcnt lgkmcnt(0)
	v_dual_mov_b32 v14, s11 :: v_dual_mov_b32 v13, s10
	v_dual_mov_b32 v0, s8 :: v_dual_mov_b32 v1, s9
	s_bitcmp0_b32 s1, 0
	s_cbranch_scc1 .LBB5_13
; %bb.12:
	v_dual_mov_b32 v0, s10 :: v_dual_mov_b32 v1, s11
	flat_load_b64 v[9:10], v[0:1]
	v_dual_mov_b32 v0, s8 :: v_dual_mov_b32 v1, s9
	flat_load_b64 v[0:1], v[0:1]
	s_waitcnt vmcnt(1) lgkmcnt(1)
	v_add_co_u32 v13, vcc_lo, v9, s2
	v_add_co_ci_u32_e32 v14, vcc_lo, s3, v10, vcc_lo
.LBB5_13:
	v_cmp_ne_u32_e32 vcc_lo, 0, v8
	s_and_b32 exec_lo, exec_lo, vcc_lo
	s_cbranch_execz .LBB5_20
; %bb.14:
	s_delay_alu instid0(VALU_DEP_2)
	v_alignbit_b32 v16, v14, v13, 2
	v_mad_u64_u32 v[8:9], null, 0xcd9e8d57, v4, 0
	v_lshrrev_b32_e32 v14, 2, v14
	s_waitcnt vmcnt(0) lgkmcnt(0)
	v_xor_b32_e32 v12, v1, v5
	v_mad_u64_u32 v[10:11], null, 0xd2511f53, v16, 0
	v_mov_b32_e32 v39, v1
	v_add_co_u32 v18, null, 0x9e3779b9, v0
	v_xor3_b32 v9, v9, v0, v14
	v_add_co_u32 v19, null, 0x3c6ef372, v0
	v_xor_b32_e32 v17, v12, v11
	v_add_co_u32 v20, null, 0x76cf5d0a, v39
	s_delay_alu instid0(VALU_DEP_4) | instskip(NEXT) | instid1(VALU_DEP_3)
	v_mad_u64_u32 v[11:12], null, 0xd2511f53, v9, 0
	v_mad_u64_u32 v[21:22], null, 0xcd9e8d57, v17, 0
	v_add_co_u32 v17, null, 0xbb67ae85, v39
	v_add_co_u32 v25, null, 0xa9066899, v39
	v_add_co_u32 v26, null, 0x1715609d, v0
	s_delay_alu instid0(VALU_DEP_3) | instskip(SKIP_3) | instid1(VALU_DEP_3)
	v_xor3_b32 v10, v17, v12, v10
	v_xor3_b32 v12, v18, v22, v8
	v_add_co_u32 v22, null, 0xdaa66d2b, v0
	s_mov_b32 s0, 0
	v_mad_u64_u32 v[8:9], null, 0xcd9e8d57, v10, 0
	s_delay_alu instid0(VALU_DEP_3) | instskip(NEXT) | instid1(VALU_DEP_2)
	v_mad_u64_u32 v[23:24], null, 0xd2511f53, v12, 0
	v_xor3_b32 v12, v19, v9, v21
	s_delay_alu instid0(VALU_DEP_2) | instskip(SKIP_1) | instid1(VALU_DEP_3)
	v_xor3_b32 v21, v20, v24, v11
	v_add_co_u32 v24, null, 0xed9eba14, v39
	v_mad_u64_u32 v[9:10], null, 0xd2511f53, v12, 0
	s_delay_alu instid0(VALU_DEP_3) | instskip(SKIP_1) | instid1(VALU_DEP_1)
	v_mad_u64_u32 v[11:12], null, 0xcd9e8d57, v21, 0
	v_add_co_u32 v21, null, 0x32370b8f, v39
	v_xor3_b32 v10, v21, v10, v23
	s_delay_alu instid0(VALU_DEP_3) | instskip(SKIP_1) | instid1(VALU_DEP_3)
	v_xor3_b32 v8, v22, v12, v8
	v_add_co_u32 v23, null, 0x78dde6e4, v0
	v_mad_u64_u32 v[27:28], null, 0xcd9e8d57, v10, 0
	s_delay_alu instid0(VALU_DEP_3) | instskip(NEXT) | instid1(VALU_DEP_2)
	v_mad_u64_u32 v[29:30], null, 0xd2511f53, v8, 0
	v_xor3_b32 v10, v23, v28, v11
	v_add_co_u32 v28, null, 0x646e171e, v39
	s_delay_alu instid0(VALU_DEP_3) | instskip(SKIP_1) | instid1(VALU_DEP_4)
	v_xor3_b32 v12, v24, v30, v9
	v_add_co_u32 v30, null, 0x5384540f, v0
	v_mad_u64_u32 v[8:9], null, 0xd2511f53, v10, 0
	s_delay_alu instid0(VALU_DEP_3) | instskip(NEXT) | instid1(VALU_DEP_2)
	v_mad_u64_u32 v[10:11], null, 0xcd9e8d57, v12, 0
	v_xor3_b32 v9, v25, v9, v29
	s_delay_alu instid0(VALU_DEP_2) | instskip(NEXT) | instid1(VALU_DEP_2)
	v_xor3_b32 v27, v26, v11, v27
	v_mad_u64_u32 v[11:12], null, 0xcd9e8d57, v9, 0
	s_delay_alu instid0(VALU_DEP_2) | instskip(SKIP_1) | instid1(VALU_DEP_1)
	v_mad_u64_u32 v[31:32], null, 0xd2511f53, v27, 0
	v_add_co_u32 v27, null, 0xb54cda56, v0
	v_xor3_b32 v10, v27, v12, v10
	s_delay_alu instid0(VALU_DEP_3) | instskip(NEXT) | instid1(VALU_DEP_2)
	v_xor3_b32 v12, v28, v32, v8
	v_mad_u64_u32 v[8:9], null, 0xd2511f53, v10, 0
	s_delay_alu instid0(VALU_DEP_2) | instskip(NEXT) | instid1(VALU_DEP_1)
	v_mad_u64_u32 v[33:34], null, 0xcd9e8d57, v12, 0
	v_xor3_b32 v10, v30, v34, v11
	v_add_nc_u32_e32 v34, 0x8ff34781, v0
	v_add_co_u32 v29, null, 0x1fd5c5a3, v39
	v_add_co_u32 v32, null, 0xdb3d7428, v39
	s_delay_alu instid0(VALU_DEP_4) | instskip(NEXT) | instid1(VALU_DEP_3)
	v_mad_u64_u32 v[37:38], null, 0xd2511f53, v10, 0
	v_xor3_b32 v9, v29, v9, v31
	v_add_co_u32 v31, null, 0xf1bbcdc8, v0
	s_delay_alu instid0(VALU_DEP_2) | instskip(NEXT) | instid1(VALU_DEP_4)
	v_mad_u64_u32 v[35:36], null, 0xcd9e8d57, v9, 0
	v_xor3_b32 v8, v32, v38, v8
	s_delay_alu instid0(VALU_DEP_2) | instskip(SKIP_2) | instid1(VALU_DEP_3)
	v_xor3_b32 v11, v31, v36, v33
	v_add_nc_u32_e32 v33, 0x96a522ad, v1
	v_sub_nc_u32_e32 v36, 0, v15
	v_mad_u64_u32 v[9:10], null, 0xd2511f53, v11, 0
	v_mad_u64_u32 v[11:12], null, 0xcd9e8d57, v8, 0
	v_mov_b32_e32 v8, 0
	s_delay_alu instid0(VALU_DEP_3) | instskip(SKIP_1) | instid1(VALU_DEP_4)
	v_xor3_b32 v38, v10, v37, v33
	v_add_co_u32 v10, vcc_lo, s6, v6
	v_xor3_b32 v39, v12, v35, v34
	v_add_co_ci_u32_e32 v35, vcc_lo, s7, v7, vcc_lo
	s_delay_alu instid0(VALU_DEP_4) | instskip(NEXT) | instid1(VALU_DEP_3)
	v_dual_mov_b32 v40, v38 :: v_dual_and_b32 v37, 3, v13
	v_mov_b32_e32 v13, v39
	s_branch .LBB5_16
.LBB5_15:                               ;   in Loop: Header=BB5_16 Depth=1
	s_or_b32 exec_lo, exec_lo, s1
	v_add_co_u32 v2, vcc_lo, v2, -4
	v_add_co_ci_u32_e32 v3, vcc_lo, -1, v3, vcc_lo
	v_cmp_gt_i32_e32 vcc_lo, 2, v9
	v_dual_mov_b32 v15, v9 :: v_dual_add_nc_u32 v36, 1, v36
	v_dual_mov_b32 v37, v41 :: v_dual_mov_b32 v38, v40
	v_mov_b32_e32 v39, v13
	v_mov_b32_e32 v11, v12
	;; [unrolled: 1-line block ×3, first 2 shown]
	s_or_b32 s0, vcc_lo, s0
	s_delay_alu instid0(SALU_CYCLE_1)
	s_and_not1_b32 exec_lo, exec_lo, s0
	s_cbranch_execz .LBB5_20
.LBB5_16:                               ; =>This Inner Loop Header: Depth=1
	s_delay_alu instid0(VALU_DEP_2) | instskip(SKIP_2) | instid1(VALU_DEP_2)
	v_dual_mov_b32 v12, v11 :: v_dual_add_nc_u32 v41, 1, v37
	v_mov_b32_e32 v6, v9
	s_mov_b32 s1, exec_lo
	v_cmpx_eq_u32_e32 4, v41
	s_cbranch_execz .LBB5_18
; %bb.17:                               ;   in Loop: Header=BB5_16 Depth=1
	v_add_co_u32 v16, vcc_lo, v16, 1
	s_delay_alu instid0(VALU_DEP_1) | instskip(SKIP_1) | instid1(VALU_DEP_1)
	v_cndmask_b32_e64 v6, 0, 1, vcc_lo
	v_add_co_ci_u32_e32 v14, vcc_lo, 0, v14, vcc_lo
	v_cmp_eq_u32_e32 vcc_lo, 0, v14
	s_delay_alu instid0(VALU_DEP_3) | instskip(SKIP_1) | instid1(VALU_DEP_2)
	v_cndmask_b32_e32 v12, 0, v6, vcc_lo
	v_mad_u64_u32 v[6:7], null, 0xd2511f53, v16, 0
	v_add_nc_u32_e32 v4, v12, v4
	s_delay_alu instid0(VALU_DEP_2) | instskip(NEXT) | instid1(VALU_DEP_2)
	v_xor_b32_e32 v7, v7, v1
	v_cmp_eq_u32_e32 vcc_lo, 0, v4
	v_cndmask_b32_e32 v40, 0, v12, vcc_lo
	v_mad_u64_u32 v[12:13], null, 0xcd9e8d57, v4, 0
	s_delay_alu instid0(VALU_DEP_2) | instskip(NEXT) | instid1(VALU_DEP_2)
	v_add_nc_u32_e32 v5, v40, v5
	v_xor3_b32 v13, v13, v0, v14
	s_delay_alu instid0(VALU_DEP_2) | instskip(NEXT) | instid1(VALU_DEP_2)
	v_xor_b32_e32 v7, v5, v7
	v_mad_u64_u32 v[40:41], null, 0xd2511f53, v13, 0
	s_delay_alu instid0(VALU_DEP_2) | instskip(NEXT) | instid1(VALU_DEP_2)
	v_mad_u64_u32 v[42:43], null, 0xcd9e8d57, v7, 0
	v_xor3_b32 v13, v17, v41, v6
	s_delay_alu instid0(VALU_DEP_2) | instskip(NEXT) | instid1(VALU_DEP_2)
	v_xor3_b32 v41, v18, v43, v12
	v_mad_u64_u32 v[6:7], null, 0xcd9e8d57, v13, 0
	s_delay_alu instid0(VALU_DEP_2) | instskip(NEXT) | instid1(VALU_DEP_2)
	v_mad_u64_u32 v[12:13], null, 0xd2511f53, v41, 0
	v_xor3_b32 v7, v19, v7, v42
	s_delay_alu instid0(VALU_DEP_2) | instskip(NEXT) | instid1(VALU_DEP_2)
	v_xor3_b32 v13, v20, v13, v40
	;; [unrolled: 6-line block ×6, first 2 shown]
	v_mad_u64_u32 v[40:41], null, 0xd2511f53, v7, 0
	s_delay_alu instid0(VALU_DEP_2) | instskip(NEXT) | instid1(VALU_DEP_2)
	v_mad_u64_u32 v[42:43], null, 0xcd9e8d57, v13, 0
	v_xor3_b32 v7, v29, v41, v12
	v_mov_b32_e32 v41, 0
	s_delay_alu instid0(VALU_DEP_3) | instskip(NEXT) | instid1(VALU_DEP_3)
	v_xor3_b32 v6, v30, v43, v6
	v_mad_u64_u32 v[43:44], null, 0xcd9e8d57, v7, 0
	s_delay_alu instid0(VALU_DEP_2) | instskip(NEXT) | instid1(VALU_DEP_2)
	v_mad_u64_u32 v[45:46], null, 0xd2511f53, v6, 0
	v_xor3_b32 v12, v31, v44, v42
	s_delay_alu instid0(VALU_DEP_2) | instskip(NEXT) | instid1(VALU_DEP_2)
	v_xor3_b32 v40, v32, v46, v40
	v_mad_u64_u32 v[6:7], null, 0xd2511f53, v12, 0
	s_delay_alu instid0(VALU_DEP_2) | instskip(NEXT) | instid1(VALU_DEP_2)
	v_mad_u64_u32 v[12:13], null, 0xcd9e8d57, v40, 0
	v_xor3_b32 v40, v7, v45, v33
	s_delay_alu instid0(VALU_DEP_2)
	v_xor3_b32 v13, v13, v43, v34
.LBB5_18:                               ;   in Loop: Header=BB5_16 Depth=1
	s_or_b32 exec_lo, exec_lo, s1
	v_cvt_f32_u32_e32 v7, v15
	v_cmp_eq_u32_e32 vcc_lo, 1, v37
	s_mov_b32 s1, exec_lo
	s_delay_alu instid0(VALU_DEP_2) | instskip(SKIP_2) | instid1(VALU_DEP_2)
	v_rcp_iflag_f32_e32 v7, v7
	v_cndmask_b32_e32 v11, v39, v11, vcc_lo
	v_cmp_eq_u32_e32 vcc_lo, 2, v37
	v_cndmask_b32_e32 v11, v11, v38, vcc_lo
	v_cmp_eq_u32_e32 vcc_lo, 3, v37
	s_waitcnt_depctr 0xfff
	v_mul_f32_e32 v7, 0x4f7ffffe, v7
	v_cndmask_b32_e32 v9, v11, v9, vcc_lo
	s_delay_alu instid0(VALU_DEP_2) | instskip(NEXT) | instid1(VALU_DEP_1)
	v_cvt_u32_f32_e32 v7, v7
	v_mul_lo_u32 v42, v36, v7
	s_delay_alu instid0(VALU_DEP_1) | instskip(NEXT) | instid1(VALU_DEP_1)
	v_mul_hi_u32 v39, v7, v42
	v_add_nc_u32_e32 v7, v7, v39
	s_delay_alu instid0(VALU_DEP_1) | instskip(NEXT) | instid1(VALU_DEP_1)
	v_mul_hi_u32 v7, v9, v7
	v_mul_lo_u32 v7, v7, v15
	s_delay_alu instid0(VALU_DEP_1) | instskip(NEXT) | instid1(VALU_DEP_1)
	v_sub_nc_u32_e32 v7, v9, v7
	v_sub_nc_u32_e32 v9, v7, v15
	v_cmp_ge_u32_e32 vcc_lo, v7, v15
	s_delay_alu instid0(VALU_DEP_2) | instskip(SKIP_1) | instid1(VALU_DEP_2)
	v_cndmask_b32_e32 v7, v7, v9, vcc_lo
	v_add_nc_u32_e32 v9, -1, v15
	v_add_nc_u32_e32 v11, v7, v36
	v_cmp_ge_u32_e32 vcc_lo, v7, v15
	s_delay_alu instid0(VALU_DEP_2) | instskip(NEXT) | instid1(VALU_DEP_1)
	v_cndmask_b32_e32 v7, v7, v11, vcc_lo
	v_cmpx_ne_u32_e64 v9, v7
	s_cbranch_execz .LBB5_15
; %bb.19:                               ;   in Loop: Header=BB5_16 Depth=1
	v_lshlrev_b64 v[37:38], 2, v[7:8]
	s_delay_alu instid0(VALU_DEP_1) | instskip(NEXT) | instid1(VALU_DEP_2)
	v_add_co_u32 v37, vcc_lo, v10, v37
	v_add_co_ci_u32_e32 v38, vcc_lo, v35, v38, vcc_lo
	global_load_b32 v7, v[37:38], off
	global_load_b32 v11, v[2:3], off
	s_waitcnt vmcnt(1)
	global_store_b32 v[2:3], v7, off
	s_waitcnt vmcnt(0)
	global_store_b32 v[37:38], v11, off
	s_branch .LBB5_15
.LBB5_20:
	s_nop 0
	s_sendmsg sendmsg(MSG_DEALLOC_VGPRS)
	s_endpgm
	.section	.rodata,"a",@progbits
	.p2align	6, 0x0
	.amdhsa_kernel _ZN12_GLOBAL__N_137randperm_handle_duplicate_keys_kernelIlN2at6native12_GLOBAL__N_110OpaqueTypeILi4EEEEEvPT_PT0_S6_iNS1_15PhiloxCudaStateE
		.amdhsa_group_segment_fixed_size 0
		.amdhsa_private_segment_fixed_size 0
		.amdhsa_kernarg_size 320
		.amdhsa_user_sgpr_count 15
		.amdhsa_user_sgpr_dispatch_ptr 0
		.amdhsa_user_sgpr_queue_ptr 0
		.amdhsa_user_sgpr_kernarg_segment_ptr 1
		.amdhsa_user_sgpr_dispatch_id 0
		.amdhsa_user_sgpr_private_segment_size 0
		.amdhsa_wavefront_size32 1
		.amdhsa_uses_dynamic_stack 0
		.amdhsa_enable_private_segment 0
		.amdhsa_system_sgpr_workgroup_id_x 1
		.amdhsa_system_sgpr_workgroup_id_y 0
		.amdhsa_system_sgpr_workgroup_id_z 0
		.amdhsa_system_sgpr_workgroup_info 0
		.amdhsa_system_vgpr_workitem_id 0
		.amdhsa_next_free_vgpr 47
		.amdhsa_next_free_sgpr 20
		.amdhsa_reserve_vcc 1
		.amdhsa_float_round_mode_32 0
		.amdhsa_float_round_mode_16_64 0
		.amdhsa_float_denorm_mode_32 3
		.amdhsa_float_denorm_mode_16_64 3
		.amdhsa_dx10_clamp 1
		.amdhsa_ieee_mode 1
		.amdhsa_fp16_overflow 0
		.amdhsa_workgroup_processor_mode 1
		.amdhsa_memory_ordered 1
		.amdhsa_forward_progress 0
		.amdhsa_shared_vgpr_count 0
		.amdhsa_exception_fp_ieee_invalid_op 0
		.amdhsa_exception_fp_denorm_src 0
		.amdhsa_exception_fp_ieee_div_zero 0
		.amdhsa_exception_fp_ieee_overflow 0
		.amdhsa_exception_fp_ieee_underflow 0
		.amdhsa_exception_fp_ieee_inexact 0
		.amdhsa_exception_int_div_zero 0
	.end_amdhsa_kernel
	.section	.text._ZN12_GLOBAL__N_137randperm_handle_duplicate_keys_kernelIlN2at6native12_GLOBAL__N_110OpaqueTypeILi4EEEEEvPT_PT0_S6_iNS1_15PhiloxCudaStateE,"axG",@progbits,_ZN12_GLOBAL__N_137randperm_handle_duplicate_keys_kernelIlN2at6native12_GLOBAL__N_110OpaqueTypeILi4EEEEEvPT_PT0_S6_iNS1_15PhiloxCudaStateE,comdat
.Lfunc_end5:
	.size	_ZN12_GLOBAL__N_137randperm_handle_duplicate_keys_kernelIlN2at6native12_GLOBAL__N_110OpaqueTypeILi4EEEEEvPT_PT0_S6_iNS1_15PhiloxCudaStateE, .Lfunc_end5-_ZN12_GLOBAL__N_137randperm_handle_duplicate_keys_kernelIlN2at6native12_GLOBAL__N_110OpaqueTypeILi4EEEEEvPT_PT0_S6_iNS1_15PhiloxCudaStateE
                                        ; -- End function
	.section	.AMDGPU.csdata,"",@progbits
; Kernel info:
; codeLenInByte = 2256
; NumSgprs: 22
; NumVgprs: 47
; ScratchSize: 0
; MemoryBound: 0
; FloatMode: 240
; IeeeMode: 1
; LDSByteSize: 0 bytes/workgroup (compile time only)
; SGPRBlocks: 2
; VGPRBlocks: 5
; NumSGPRsForWavesPerEU: 22
; NumVGPRsForWavesPerEU: 47
; Occupancy: 16
; WaveLimiterHint : 0
; COMPUTE_PGM_RSRC2:SCRATCH_EN: 0
; COMPUTE_PGM_RSRC2:USER_SGPR: 15
; COMPUTE_PGM_RSRC2:TRAP_HANDLER: 0
; COMPUTE_PGM_RSRC2:TGID_X_EN: 1
; COMPUTE_PGM_RSRC2:TGID_Y_EN: 0
; COMPUTE_PGM_RSRC2:TGID_Z_EN: 0
; COMPUTE_PGM_RSRC2:TIDIG_COMP_CNT: 0
	.section	.text._ZN12_GLOBAL__N_137randperm_handle_duplicate_keys_kernelIlN2at6native12_GLOBAL__N_110OpaqueTypeILi8EEEEEvPT_PT0_S6_iNS1_15PhiloxCudaStateE,"axG",@progbits,_ZN12_GLOBAL__N_137randperm_handle_duplicate_keys_kernelIlN2at6native12_GLOBAL__N_110OpaqueTypeILi8EEEEEvPT_PT0_S6_iNS1_15PhiloxCudaStateE,comdat
	.globl	_ZN12_GLOBAL__N_137randperm_handle_duplicate_keys_kernelIlN2at6native12_GLOBAL__N_110OpaqueTypeILi8EEEEEvPT_PT0_S6_iNS1_15PhiloxCudaStateE ; -- Begin function _ZN12_GLOBAL__N_137randperm_handle_duplicate_keys_kernelIlN2at6native12_GLOBAL__N_110OpaqueTypeILi8EEEEEvPT_PT0_S6_iNS1_15PhiloxCudaStateE
	.p2align	8
	.type	_ZN12_GLOBAL__N_137randperm_handle_duplicate_keys_kernelIlN2at6native12_GLOBAL__N_110OpaqueTypeILi8EEEEEvPT_PT0_S6_iNS1_15PhiloxCudaStateE,@function
_ZN12_GLOBAL__N_137randperm_handle_duplicate_keys_kernelIlN2at6native12_GLOBAL__N_110OpaqueTypeILi8EEEEEvPT_PT0_S6_iNS1_15PhiloxCudaStateE: ; @_ZN12_GLOBAL__N_137randperm_handle_duplicate_keys_kernelIlN2at6native12_GLOBAL__N_110OpaqueTypeILi8EEEEEvPT_PT0_S6_iNS1_15PhiloxCudaStateE
; %bb.0:
	s_clause 0x1
	s_load_b32 s2, s[0:1], 0x4c
	s_load_b32 s14, s[0:1], 0x18
	s_waitcnt lgkmcnt(0)
	s_and_b32 s2, s2, 0xffff
	s_delay_alu instid0(SALU_CYCLE_1)
	v_mad_u64_u32 v[4:5], null, s15, s2, v[0:1]
	s_add_i32 s2, s14, -1
	s_delay_alu instid0(VALU_DEP_1) | instid1(SALU_CYCLE_1)
	v_cmp_gt_i32_e32 vcc_lo, s2, v4
	s_and_saveexec_b32 s2, vcc_lo
	s_cbranch_execz .LBB6_20
; %bb.1:
	s_clause 0x1
	s_load_b128 s[4:7], s[0:1], 0x0
	s_load_b64 s[12:13], s[0:1], 0x10
	v_ashrrev_i32_e32 v5, 31, v4
	s_delay_alu instid0(VALU_DEP_1) | instskip(SKIP_1) | instid1(VALU_DEP_1)
	v_lshlrev_b64 v[6:7], 3, v[4:5]
	s_waitcnt lgkmcnt(0)
	v_add_co_u32 v8, vcc_lo, s4, v6
	s_delay_alu instid0(VALU_DEP_2)
	v_add_co_ci_u32_e32 v9, vcc_lo, s5, v7, vcc_lo
	global_load_b128 v[0:3], v[8:9], off
	s_waitcnt vmcnt(0)
	v_and_b32_e32 v11, s13, v1
	v_and_b32_e32 v10, s12, v0
	;; [unrolled: 1-line block ×4, first 2 shown]
	s_delay_alu instid0(VALU_DEP_1)
	v_cmp_eq_u64_e32 vcc_lo, v[10:11], v[2:3]
	s_and_b32 exec_lo, exec_lo, vcc_lo
	s_cbranch_execz .LBB6_20
; %bb.2:
	v_cmp_eq_u32_e64 s2, 0, v4
	s_mov_b32 s3, exec_lo
	v_cmpx_ne_u32_e32 0, v4
	s_cbranch_execz .LBB6_4
; %bb.3:
	global_load_b64 v[2:3], v[8:9], off offset:-8
	s_and_not1_b32 s2, s2, exec_lo
	s_waitcnt vmcnt(0)
	v_and_b32_e32 v3, s13, v3
	v_and_b32_e32 v2, s12, v2
	s_delay_alu instid0(VALU_DEP_1) | instskip(SKIP_1) | instid1(SALU_CYCLE_1)
	v_cmp_ne_u64_e32 vcc_lo, v[10:11], v[2:3]
	s_and_b32 s4, vcc_lo, exec_lo
	s_or_b32 s2, s2, s4
.LBB6_4:
	s_or_b32 exec_lo, exec_lo, s3
	s_delay_alu instid0(SALU_CYCLE_1)
	s_and_b32 exec_lo, exec_lo, s2
	s_cbranch_execz .LBB6_20
; %bb.5:
	s_clause 0x2
	s_load_b128 s[8:11], s[0:1], 0x20
	s_load_b64 s[2:3], s[0:1], 0x30
	s_load_b32 s1, s[0:1], 0x38
	v_add_co_u32 v8, vcc_lo, v8, 8
	v_add_co_ci_u32_e32 v9, vcc_lo, 0, v9, vcc_lo
	v_add_co_u32 v10, vcc_lo, s6, v6
	v_add_co_ci_u32_e32 v11, vcc_lo, s7, v7, vcc_lo
	s_mov_b32 s17, 1
	s_mov_b32 s5, 0
                                        ; implicit-def: $sgpr4
                                        ; implicit-def: $sgpr16
                                        ; implicit-def: $sgpr15
	s_set_inst_prefetch_distance 0x1
	s_branch .LBB6_7
	.p2align	6
.LBB6_6:                                ;   in Loop: Header=BB6_7 Depth=1
	s_or_b32 exec_lo, exec_lo, s19
	s_delay_alu instid0(SALU_CYCLE_1)
	s_and_b32 s0, exec_lo, s16
	v_mov_b32_e32 v15, s17
	s_or_b32 s5, s0, s5
	s_and_not1_b32 s0, s4, exec_lo
	s_and_b32 s4, s15, exec_lo
	s_mov_b32 s17, s18
	s_or_b32 s4, s0, s4
	s_and_not1_b32 exec_lo, exec_lo, s5
	s_cbranch_execz .LBB6_9
.LBB6_7:                                ; =>This Inner Loop Header: Depth=1
	v_mov_b32_e32 v2, v10
	v_dual_mov_b32 v3, v11 :: v_dual_add_nc_u32 v12, s17, v4
	s_or_b32 s15, s15, exec_lo
	s_or_b32 s16, s16, exec_lo
	s_mov_b32 s19, exec_lo
                                        ; implicit-def: $sgpr18
                                        ; implicit-def: $vgpr10_vgpr11
	s_delay_alu instid0(VALU_DEP_1)
	v_cmpx_gt_i32_e64 s14, v12
	s_cbranch_execz .LBB6_6
; %bb.8:                                ;   in Loop: Header=BB6_7 Depth=1
	global_load_b64 v[10:11], v[8:9], off
	s_add_i32 s18, s17, 1
	s_and_not1_b32 s15, s15, exec_lo
	s_waitcnt vmcnt(0)
	v_xor_b32_e32 v11, v11, v1
	v_xor_b32_e32 v10, v10, v0
	s_delay_alu instid0(VALU_DEP_2) | instskip(NEXT) | instid1(VALU_DEP_2)
	v_and_b32_e32 v11, s13, v11
	v_and_b32_e32 v10, s12, v10
	s_delay_alu instid0(VALU_DEP_1) | instskip(SKIP_1) | instid1(VALU_DEP_1)
	v_cmp_ne_u64_e32 vcc_lo, 0, v[10:11]
	v_add_co_u32 v10, s0, v2, 8
	v_add_co_ci_u32_e64 v11, s0, 0, v3, s0
	v_add_co_u32 v8, s0, v8, 8
	s_delay_alu instid0(VALU_DEP_1) | instskip(SKIP_2) | instid1(SALU_CYCLE_1)
	v_add_co_ci_u32_e64 v9, s0, 0, v9, s0
	s_and_not1_b32 s0, s16, exec_lo
	s_and_b32 s16, vcc_lo, exec_lo
	s_or_b32 s16, s0, s16
	s_branch .LBB6_6
.LBB6_9:
	s_set_inst_prefetch_distance 0x2
	s_or_b32 exec_lo, exec_lo, s5
	v_add_nc_u32_e32 v8, -1, v15
	s_xor_b32 s0, s4, -1
	s_delay_alu instid0(SALU_CYCLE_1) | instskip(NEXT) | instid1(SALU_CYCLE_1)
	s_and_saveexec_b32 s4, s0
	s_xor_b32 s0, exec_lo, s4
; %bb.10:
	v_add_nc_u32_e32 v8, -1, v15
; %bb.11:
	s_and_not1_saveexec_b32 s0, s0
	s_delay_alu instid0(SALU_CYCLE_1)
	s_or_b32 exec_lo, exec_lo, s0
	s_waitcnt lgkmcnt(0)
	v_dual_mov_b32 v14, s11 :: v_dual_mov_b32 v13, s10
	v_dual_mov_b32 v0, s8 :: v_dual_mov_b32 v1, s9
	s_bitcmp0_b32 s1, 0
	s_cbranch_scc1 .LBB6_13
; %bb.12:
	v_dual_mov_b32 v0, s10 :: v_dual_mov_b32 v1, s11
	flat_load_b64 v[9:10], v[0:1]
	v_dual_mov_b32 v0, s8 :: v_dual_mov_b32 v1, s9
	flat_load_b64 v[0:1], v[0:1]
	s_waitcnt vmcnt(1) lgkmcnt(1)
	v_add_co_u32 v13, vcc_lo, v9, s2
	v_add_co_ci_u32_e32 v14, vcc_lo, s3, v10, vcc_lo
.LBB6_13:
	v_cmp_ne_u32_e32 vcc_lo, 0, v8
	s_and_b32 exec_lo, exec_lo, vcc_lo
	s_cbranch_execz .LBB6_20
; %bb.14:
	s_delay_alu instid0(VALU_DEP_2)
	v_alignbit_b32 v16, v14, v13, 2
	v_mad_u64_u32 v[8:9], null, 0xcd9e8d57, v4, 0
	v_lshrrev_b32_e32 v14, 2, v14
	s_waitcnt vmcnt(0) lgkmcnt(0)
	v_xor_b32_e32 v12, v1, v5
	v_mad_u64_u32 v[10:11], null, 0xd2511f53, v16, 0
	v_mov_b32_e32 v39, v1
	v_add_co_u32 v18, null, 0x9e3779b9, v0
	v_xor3_b32 v9, v9, v0, v14
	v_add_co_u32 v19, null, 0x3c6ef372, v0
	v_xor_b32_e32 v17, v12, v11
	v_add_co_u32 v20, null, 0x76cf5d0a, v39
	s_delay_alu instid0(VALU_DEP_4) | instskip(NEXT) | instid1(VALU_DEP_3)
	v_mad_u64_u32 v[11:12], null, 0xd2511f53, v9, 0
	v_mad_u64_u32 v[21:22], null, 0xcd9e8d57, v17, 0
	v_add_co_u32 v17, null, 0xbb67ae85, v39
	v_add_co_u32 v25, null, 0xa9066899, v39
	;; [unrolled: 1-line block ×3, first 2 shown]
	s_delay_alu instid0(VALU_DEP_3) | instskip(SKIP_3) | instid1(VALU_DEP_3)
	v_xor3_b32 v10, v17, v12, v10
	v_xor3_b32 v12, v18, v22, v8
	v_add_co_u32 v22, null, 0xdaa66d2b, v0
	s_mov_b32 s0, 0
	v_mad_u64_u32 v[8:9], null, 0xcd9e8d57, v10, 0
	s_delay_alu instid0(VALU_DEP_3) | instskip(NEXT) | instid1(VALU_DEP_2)
	v_mad_u64_u32 v[23:24], null, 0xd2511f53, v12, 0
	v_xor3_b32 v12, v19, v9, v21
	s_delay_alu instid0(VALU_DEP_2) | instskip(SKIP_1) | instid1(VALU_DEP_3)
	v_xor3_b32 v21, v20, v24, v11
	v_add_co_u32 v24, null, 0xed9eba14, v39
	v_mad_u64_u32 v[9:10], null, 0xd2511f53, v12, 0
	s_delay_alu instid0(VALU_DEP_3) | instskip(SKIP_1) | instid1(VALU_DEP_1)
	v_mad_u64_u32 v[11:12], null, 0xcd9e8d57, v21, 0
	v_add_co_u32 v21, null, 0x32370b8f, v39
	v_xor3_b32 v10, v21, v10, v23
	s_delay_alu instid0(VALU_DEP_3) | instskip(SKIP_1) | instid1(VALU_DEP_3)
	v_xor3_b32 v8, v22, v12, v8
	v_add_co_u32 v23, null, 0x78dde6e4, v0
	v_mad_u64_u32 v[27:28], null, 0xcd9e8d57, v10, 0
	s_delay_alu instid0(VALU_DEP_3) | instskip(NEXT) | instid1(VALU_DEP_2)
	v_mad_u64_u32 v[29:30], null, 0xd2511f53, v8, 0
	v_xor3_b32 v10, v23, v28, v11
	v_add_co_u32 v28, null, 0x646e171e, v39
	s_delay_alu instid0(VALU_DEP_3) | instskip(SKIP_1) | instid1(VALU_DEP_4)
	v_xor3_b32 v12, v24, v30, v9
	v_add_co_u32 v30, null, 0x5384540f, v0
	v_mad_u64_u32 v[8:9], null, 0xd2511f53, v10, 0
	s_delay_alu instid0(VALU_DEP_3) | instskip(NEXT) | instid1(VALU_DEP_2)
	v_mad_u64_u32 v[10:11], null, 0xcd9e8d57, v12, 0
	v_xor3_b32 v9, v25, v9, v29
	s_delay_alu instid0(VALU_DEP_2) | instskip(NEXT) | instid1(VALU_DEP_2)
	v_xor3_b32 v27, v26, v11, v27
	v_mad_u64_u32 v[11:12], null, 0xcd9e8d57, v9, 0
	s_delay_alu instid0(VALU_DEP_2) | instskip(SKIP_1) | instid1(VALU_DEP_1)
	v_mad_u64_u32 v[31:32], null, 0xd2511f53, v27, 0
	v_add_co_u32 v27, null, 0xb54cda56, v0
	v_xor3_b32 v10, v27, v12, v10
	s_delay_alu instid0(VALU_DEP_3) | instskip(NEXT) | instid1(VALU_DEP_2)
	v_xor3_b32 v12, v28, v32, v8
	v_mad_u64_u32 v[8:9], null, 0xd2511f53, v10, 0
	s_delay_alu instid0(VALU_DEP_2) | instskip(NEXT) | instid1(VALU_DEP_1)
	v_mad_u64_u32 v[33:34], null, 0xcd9e8d57, v12, 0
	v_xor3_b32 v10, v30, v34, v11
	v_add_nc_u32_e32 v34, 0x8ff34781, v0
	v_add_co_u32 v29, null, 0x1fd5c5a3, v39
	v_add_co_u32 v32, null, 0xdb3d7428, v39
	s_delay_alu instid0(VALU_DEP_4) | instskip(NEXT) | instid1(VALU_DEP_3)
	v_mad_u64_u32 v[37:38], null, 0xd2511f53, v10, 0
	v_xor3_b32 v9, v29, v9, v31
	v_add_co_u32 v31, null, 0xf1bbcdc8, v0
	s_delay_alu instid0(VALU_DEP_2) | instskip(NEXT) | instid1(VALU_DEP_4)
	v_mad_u64_u32 v[35:36], null, 0xcd9e8d57, v9, 0
	v_xor3_b32 v8, v32, v38, v8
	s_delay_alu instid0(VALU_DEP_2) | instskip(SKIP_2) | instid1(VALU_DEP_3)
	v_xor3_b32 v11, v31, v36, v33
	v_add_nc_u32_e32 v33, 0x96a522ad, v1
	v_sub_nc_u32_e32 v36, 0, v15
	v_mad_u64_u32 v[9:10], null, 0xd2511f53, v11, 0
	v_mad_u64_u32 v[11:12], null, 0xcd9e8d57, v8, 0
	v_mov_b32_e32 v8, 0
	s_delay_alu instid0(VALU_DEP_3) | instskip(SKIP_1) | instid1(VALU_DEP_4)
	v_xor3_b32 v38, v10, v37, v33
	v_add_co_u32 v10, vcc_lo, s6, v6
	v_xor3_b32 v39, v12, v35, v34
	v_add_co_ci_u32_e32 v35, vcc_lo, s7, v7, vcc_lo
	s_delay_alu instid0(VALU_DEP_4) | instskip(NEXT) | instid1(VALU_DEP_3)
	v_dual_mov_b32 v40, v38 :: v_dual_and_b32 v37, 3, v13
	v_mov_b32_e32 v13, v39
	s_branch .LBB6_16
.LBB6_15:                               ;   in Loop: Header=BB6_16 Depth=1
	s_or_b32 exec_lo, exec_lo, s1
	v_add_co_u32 v2, vcc_lo, v2, -8
	v_add_co_ci_u32_e32 v3, vcc_lo, -1, v3, vcc_lo
	v_cmp_gt_i32_e32 vcc_lo, 2, v9
	v_dual_mov_b32 v15, v9 :: v_dual_add_nc_u32 v36, 1, v36
	v_dual_mov_b32 v37, v41 :: v_dual_mov_b32 v38, v40
	v_mov_b32_e32 v39, v13
	v_mov_b32_e32 v11, v12
	;; [unrolled: 1-line block ×3, first 2 shown]
	s_or_b32 s0, vcc_lo, s0
	s_delay_alu instid0(SALU_CYCLE_1)
	s_and_not1_b32 exec_lo, exec_lo, s0
	s_cbranch_execz .LBB6_20
.LBB6_16:                               ; =>This Inner Loop Header: Depth=1
	s_delay_alu instid0(VALU_DEP_2) | instskip(SKIP_2) | instid1(VALU_DEP_2)
	v_dual_mov_b32 v12, v11 :: v_dual_add_nc_u32 v41, 1, v37
	v_mov_b32_e32 v6, v9
	s_mov_b32 s1, exec_lo
	v_cmpx_eq_u32_e32 4, v41
	s_cbranch_execz .LBB6_18
; %bb.17:                               ;   in Loop: Header=BB6_16 Depth=1
	v_add_co_u32 v16, vcc_lo, v16, 1
	s_delay_alu instid0(VALU_DEP_1) | instskip(SKIP_1) | instid1(VALU_DEP_1)
	v_cndmask_b32_e64 v6, 0, 1, vcc_lo
	v_add_co_ci_u32_e32 v14, vcc_lo, 0, v14, vcc_lo
	v_cmp_eq_u32_e32 vcc_lo, 0, v14
	s_delay_alu instid0(VALU_DEP_3) | instskip(SKIP_1) | instid1(VALU_DEP_2)
	v_cndmask_b32_e32 v12, 0, v6, vcc_lo
	v_mad_u64_u32 v[6:7], null, 0xd2511f53, v16, 0
	v_add_nc_u32_e32 v4, v12, v4
	s_delay_alu instid0(VALU_DEP_2) | instskip(NEXT) | instid1(VALU_DEP_2)
	v_xor_b32_e32 v7, v7, v1
	v_cmp_eq_u32_e32 vcc_lo, 0, v4
	v_cndmask_b32_e32 v40, 0, v12, vcc_lo
	v_mad_u64_u32 v[12:13], null, 0xcd9e8d57, v4, 0
	s_delay_alu instid0(VALU_DEP_2) | instskip(NEXT) | instid1(VALU_DEP_2)
	v_add_nc_u32_e32 v5, v40, v5
	v_xor3_b32 v13, v13, v0, v14
	s_delay_alu instid0(VALU_DEP_2) | instskip(NEXT) | instid1(VALU_DEP_2)
	v_xor_b32_e32 v7, v5, v7
	v_mad_u64_u32 v[40:41], null, 0xd2511f53, v13, 0
	s_delay_alu instid0(VALU_DEP_2) | instskip(NEXT) | instid1(VALU_DEP_2)
	v_mad_u64_u32 v[42:43], null, 0xcd9e8d57, v7, 0
	v_xor3_b32 v13, v17, v41, v6
	s_delay_alu instid0(VALU_DEP_2) | instskip(NEXT) | instid1(VALU_DEP_2)
	v_xor3_b32 v41, v18, v43, v12
	v_mad_u64_u32 v[6:7], null, 0xcd9e8d57, v13, 0
	s_delay_alu instid0(VALU_DEP_2) | instskip(NEXT) | instid1(VALU_DEP_2)
	v_mad_u64_u32 v[12:13], null, 0xd2511f53, v41, 0
	v_xor3_b32 v7, v19, v7, v42
	s_delay_alu instid0(VALU_DEP_2) | instskip(NEXT) | instid1(VALU_DEP_2)
	v_xor3_b32 v13, v20, v13, v40
	;; [unrolled: 6-line block ×6, first 2 shown]
	v_mad_u64_u32 v[40:41], null, 0xd2511f53, v7, 0
	s_delay_alu instid0(VALU_DEP_2) | instskip(NEXT) | instid1(VALU_DEP_2)
	v_mad_u64_u32 v[42:43], null, 0xcd9e8d57, v13, 0
	v_xor3_b32 v7, v29, v41, v12
	v_mov_b32_e32 v41, 0
	s_delay_alu instid0(VALU_DEP_3) | instskip(NEXT) | instid1(VALU_DEP_3)
	v_xor3_b32 v6, v30, v43, v6
	v_mad_u64_u32 v[43:44], null, 0xcd9e8d57, v7, 0
	s_delay_alu instid0(VALU_DEP_2) | instskip(NEXT) | instid1(VALU_DEP_2)
	v_mad_u64_u32 v[45:46], null, 0xd2511f53, v6, 0
	v_xor3_b32 v12, v31, v44, v42
	s_delay_alu instid0(VALU_DEP_2) | instskip(NEXT) | instid1(VALU_DEP_2)
	v_xor3_b32 v40, v32, v46, v40
	v_mad_u64_u32 v[6:7], null, 0xd2511f53, v12, 0
	s_delay_alu instid0(VALU_DEP_2) | instskip(NEXT) | instid1(VALU_DEP_2)
	v_mad_u64_u32 v[12:13], null, 0xcd9e8d57, v40, 0
	v_xor3_b32 v40, v7, v45, v33
	s_delay_alu instid0(VALU_DEP_2)
	v_xor3_b32 v13, v13, v43, v34
.LBB6_18:                               ;   in Loop: Header=BB6_16 Depth=1
	s_or_b32 exec_lo, exec_lo, s1
	v_cvt_f32_u32_e32 v7, v15
	v_cmp_eq_u32_e32 vcc_lo, 1, v37
	s_mov_b32 s1, exec_lo
	s_delay_alu instid0(VALU_DEP_2) | instskip(SKIP_2) | instid1(VALU_DEP_2)
	v_rcp_iflag_f32_e32 v7, v7
	v_cndmask_b32_e32 v11, v39, v11, vcc_lo
	v_cmp_eq_u32_e32 vcc_lo, 2, v37
	v_cndmask_b32_e32 v11, v11, v38, vcc_lo
	v_cmp_eq_u32_e32 vcc_lo, 3, v37
	s_waitcnt_depctr 0xfff
	v_mul_f32_e32 v7, 0x4f7ffffe, v7
	v_cndmask_b32_e32 v9, v11, v9, vcc_lo
	s_delay_alu instid0(VALU_DEP_2) | instskip(NEXT) | instid1(VALU_DEP_1)
	v_cvt_u32_f32_e32 v7, v7
	v_mul_lo_u32 v42, v36, v7
	s_delay_alu instid0(VALU_DEP_1) | instskip(NEXT) | instid1(VALU_DEP_1)
	v_mul_hi_u32 v39, v7, v42
	v_add_nc_u32_e32 v7, v7, v39
	s_delay_alu instid0(VALU_DEP_1) | instskip(NEXT) | instid1(VALU_DEP_1)
	v_mul_hi_u32 v7, v9, v7
	v_mul_lo_u32 v7, v7, v15
	s_delay_alu instid0(VALU_DEP_1) | instskip(NEXT) | instid1(VALU_DEP_1)
	v_sub_nc_u32_e32 v7, v9, v7
	v_sub_nc_u32_e32 v9, v7, v15
	v_cmp_ge_u32_e32 vcc_lo, v7, v15
	s_delay_alu instid0(VALU_DEP_2) | instskip(SKIP_1) | instid1(VALU_DEP_2)
	v_cndmask_b32_e32 v7, v7, v9, vcc_lo
	v_add_nc_u32_e32 v9, -1, v15
	v_add_nc_u32_e32 v11, v7, v36
	v_cmp_ge_u32_e32 vcc_lo, v7, v15
	s_delay_alu instid0(VALU_DEP_2) | instskip(NEXT) | instid1(VALU_DEP_1)
	v_cndmask_b32_e32 v7, v7, v11, vcc_lo
	v_cmpx_ne_u32_e64 v9, v7
	s_cbranch_execz .LBB6_15
; %bb.19:                               ;   in Loop: Header=BB6_16 Depth=1
	v_lshlrev_b64 v[37:38], 3, v[7:8]
	s_delay_alu instid0(VALU_DEP_1) | instskip(NEXT) | instid1(VALU_DEP_2)
	v_add_co_u32 v37, vcc_lo, v10, v37
	v_add_co_ci_u32_e32 v38, vcc_lo, v35, v38, vcc_lo
	global_load_b64 v[42:43], v[37:38], off
	global_load_b64 v[44:45], v[2:3], off
	s_waitcnt vmcnt(1)
	global_store_b64 v[2:3], v[42:43], off
	s_waitcnt vmcnt(0)
	global_store_b64 v[37:38], v[44:45], off
	s_branch .LBB6_15
.LBB6_20:
	s_nop 0
	s_sendmsg sendmsg(MSG_DEALLOC_VGPRS)
	s_endpgm
	.section	.rodata,"a",@progbits
	.p2align	6, 0x0
	.amdhsa_kernel _ZN12_GLOBAL__N_137randperm_handle_duplicate_keys_kernelIlN2at6native12_GLOBAL__N_110OpaqueTypeILi8EEEEEvPT_PT0_S6_iNS1_15PhiloxCudaStateE
		.amdhsa_group_segment_fixed_size 0
		.amdhsa_private_segment_fixed_size 0
		.amdhsa_kernarg_size 320
		.amdhsa_user_sgpr_count 15
		.amdhsa_user_sgpr_dispatch_ptr 0
		.amdhsa_user_sgpr_queue_ptr 0
		.amdhsa_user_sgpr_kernarg_segment_ptr 1
		.amdhsa_user_sgpr_dispatch_id 0
		.amdhsa_user_sgpr_private_segment_size 0
		.amdhsa_wavefront_size32 1
		.amdhsa_uses_dynamic_stack 0
		.amdhsa_enable_private_segment 0
		.amdhsa_system_sgpr_workgroup_id_x 1
		.amdhsa_system_sgpr_workgroup_id_y 0
		.amdhsa_system_sgpr_workgroup_id_z 0
		.amdhsa_system_sgpr_workgroup_info 0
		.amdhsa_system_vgpr_workitem_id 0
		.amdhsa_next_free_vgpr 47
		.amdhsa_next_free_sgpr 20
		.amdhsa_reserve_vcc 1
		.amdhsa_float_round_mode_32 0
		.amdhsa_float_round_mode_16_64 0
		.amdhsa_float_denorm_mode_32 3
		.amdhsa_float_denorm_mode_16_64 3
		.amdhsa_dx10_clamp 1
		.amdhsa_ieee_mode 1
		.amdhsa_fp16_overflow 0
		.amdhsa_workgroup_processor_mode 1
		.amdhsa_memory_ordered 1
		.amdhsa_forward_progress 0
		.amdhsa_shared_vgpr_count 0
		.amdhsa_exception_fp_ieee_invalid_op 0
		.amdhsa_exception_fp_denorm_src 0
		.amdhsa_exception_fp_ieee_div_zero 0
		.amdhsa_exception_fp_ieee_overflow 0
		.amdhsa_exception_fp_ieee_underflow 0
		.amdhsa_exception_fp_ieee_inexact 0
		.amdhsa_exception_int_div_zero 0
	.end_amdhsa_kernel
	.section	.text._ZN12_GLOBAL__N_137randperm_handle_duplicate_keys_kernelIlN2at6native12_GLOBAL__N_110OpaqueTypeILi8EEEEEvPT_PT0_S6_iNS1_15PhiloxCudaStateE,"axG",@progbits,_ZN12_GLOBAL__N_137randperm_handle_duplicate_keys_kernelIlN2at6native12_GLOBAL__N_110OpaqueTypeILi8EEEEEvPT_PT0_S6_iNS1_15PhiloxCudaStateE,comdat
.Lfunc_end6:
	.size	_ZN12_GLOBAL__N_137randperm_handle_duplicate_keys_kernelIlN2at6native12_GLOBAL__N_110OpaqueTypeILi8EEEEEvPT_PT0_S6_iNS1_15PhiloxCudaStateE, .Lfunc_end6-_ZN12_GLOBAL__N_137randperm_handle_duplicate_keys_kernelIlN2at6native12_GLOBAL__N_110OpaqueTypeILi8EEEEEvPT_PT0_S6_iNS1_15PhiloxCudaStateE
                                        ; -- End function
	.section	.AMDGPU.csdata,"",@progbits
; Kernel info:
; codeLenInByte = 2244
; NumSgprs: 22
; NumVgprs: 47
; ScratchSize: 0
; MemoryBound: 1
; FloatMode: 240
; IeeeMode: 1
; LDSByteSize: 0 bytes/workgroup (compile time only)
; SGPRBlocks: 2
; VGPRBlocks: 5
; NumSGPRsForWavesPerEU: 22
; NumVGPRsForWavesPerEU: 47
; Occupancy: 16
; WaveLimiterHint : 0
; COMPUTE_PGM_RSRC2:SCRATCH_EN: 0
; COMPUTE_PGM_RSRC2:USER_SGPR: 15
; COMPUTE_PGM_RSRC2:TRAP_HANDLER: 0
; COMPUTE_PGM_RSRC2:TGID_X_EN: 1
; COMPUTE_PGM_RSRC2:TGID_Y_EN: 0
; COMPUTE_PGM_RSRC2:TGID_Z_EN: 0
; COMPUTE_PGM_RSRC2:TIDIG_COMP_CNT: 0
	.section	.text._ZN12_GLOBAL__N_137randperm_handle_duplicate_keys_kernelIlN2at6native12_GLOBAL__N_110OpaqueTypeILi2EEEEEvPT_PT0_S6_iNS1_15PhiloxCudaStateE,"axG",@progbits,_ZN12_GLOBAL__N_137randperm_handle_duplicate_keys_kernelIlN2at6native12_GLOBAL__N_110OpaqueTypeILi2EEEEEvPT_PT0_S6_iNS1_15PhiloxCudaStateE,comdat
	.globl	_ZN12_GLOBAL__N_137randperm_handle_duplicate_keys_kernelIlN2at6native12_GLOBAL__N_110OpaqueTypeILi2EEEEEvPT_PT0_S6_iNS1_15PhiloxCudaStateE ; -- Begin function _ZN12_GLOBAL__N_137randperm_handle_duplicate_keys_kernelIlN2at6native12_GLOBAL__N_110OpaqueTypeILi2EEEEEvPT_PT0_S6_iNS1_15PhiloxCudaStateE
	.p2align	8
	.type	_ZN12_GLOBAL__N_137randperm_handle_duplicate_keys_kernelIlN2at6native12_GLOBAL__N_110OpaqueTypeILi2EEEEEvPT_PT0_S6_iNS1_15PhiloxCudaStateE,@function
_ZN12_GLOBAL__N_137randperm_handle_duplicate_keys_kernelIlN2at6native12_GLOBAL__N_110OpaqueTypeILi2EEEEEvPT_PT0_S6_iNS1_15PhiloxCudaStateE: ; @_ZN12_GLOBAL__N_137randperm_handle_duplicate_keys_kernelIlN2at6native12_GLOBAL__N_110OpaqueTypeILi2EEEEEvPT_PT0_S6_iNS1_15PhiloxCudaStateE
; %bb.0:
	s_clause 0x1
	s_load_b32 s2, s[0:1], 0x4c
	s_load_b32 s14, s[0:1], 0x18
	s_waitcnt lgkmcnt(0)
	s_and_b32 s2, s2, 0xffff
	s_delay_alu instid0(SALU_CYCLE_1)
	v_mad_u64_u32 v[4:5], null, s15, s2, v[0:1]
	s_add_i32 s2, s14, -1
	s_delay_alu instid0(VALU_DEP_1) | instid1(SALU_CYCLE_1)
	v_cmp_gt_i32_e32 vcc_lo, s2, v4
	s_and_saveexec_b32 s2, vcc_lo
	s_cbranch_execz .LBB7_20
; %bb.1:
	s_clause 0x1
	s_load_b128 s[4:7], s[0:1], 0x0
	s_load_b64 s[12:13], s[0:1], 0x10
	v_ashrrev_i32_e32 v5, 31, v4
	s_delay_alu instid0(VALU_DEP_1) | instskip(SKIP_1) | instid1(VALU_DEP_1)
	v_lshlrev_b64 v[0:1], 3, v[4:5]
	s_waitcnt lgkmcnt(0)
	v_add_co_u32 v8, vcc_lo, s4, v0
	s_delay_alu instid0(VALU_DEP_2)
	v_add_co_ci_u32_e32 v9, vcc_lo, s5, v1, vcc_lo
	global_load_b128 v[0:3], v[8:9], off
	s_waitcnt vmcnt(0)
	v_and_b32_e32 v7, s13, v1
	v_and_b32_e32 v6, s12, v0
	;; [unrolled: 1-line block ×4, first 2 shown]
	s_delay_alu instid0(VALU_DEP_1)
	v_cmp_eq_u64_e32 vcc_lo, v[6:7], v[2:3]
	s_and_b32 exec_lo, exec_lo, vcc_lo
	s_cbranch_execz .LBB7_20
; %bb.2:
	v_cmp_eq_u32_e64 s2, 0, v4
	s_mov_b32 s3, exec_lo
	v_cmpx_ne_u32_e32 0, v4
	s_cbranch_execz .LBB7_4
; %bb.3:
	global_load_b64 v[2:3], v[8:9], off offset:-8
	s_and_not1_b32 s2, s2, exec_lo
	s_waitcnt vmcnt(0)
	v_and_b32_e32 v3, s13, v3
	v_and_b32_e32 v2, s12, v2
	s_delay_alu instid0(VALU_DEP_1) | instskip(SKIP_1) | instid1(SALU_CYCLE_1)
	v_cmp_ne_u64_e32 vcc_lo, v[6:7], v[2:3]
	s_and_b32 s4, vcc_lo, exec_lo
	s_or_b32 s2, s2, s4
.LBB7_4:
	s_or_b32 exec_lo, exec_lo, s3
	s_delay_alu instid0(SALU_CYCLE_1)
	s_and_b32 exec_lo, exec_lo, s2
	s_cbranch_execz .LBB7_20
; %bb.5:
	s_clause 0x2
	s_load_b128 s[8:11], s[0:1], 0x20
	s_load_b64 s[2:3], s[0:1], 0x30
	s_load_b32 s1, s[0:1], 0x38
	v_lshlrev_b64 v[6:7], 1, v[4:5]
	v_add_co_u32 v8, vcc_lo, v8, 8
	v_add_co_ci_u32_e32 v9, vcc_lo, 0, v9, vcc_lo
	s_mov_b32 s17, 1
	s_delay_alu instid0(VALU_DEP_3) | instskip(NEXT) | instid1(VALU_DEP_4)
	v_add_co_u32 v10, vcc_lo, s6, v6
	v_add_co_ci_u32_e32 v11, vcc_lo, s7, v7, vcc_lo
	s_mov_b32 s5, 0
                                        ; implicit-def: $sgpr4
                                        ; implicit-def: $sgpr16
                                        ; implicit-def: $sgpr15
	s_set_inst_prefetch_distance 0x1
	s_branch .LBB7_7
	.p2align	6
.LBB7_6:                                ;   in Loop: Header=BB7_7 Depth=1
	s_or_b32 exec_lo, exec_lo, s19
	s_delay_alu instid0(SALU_CYCLE_1)
	s_and_b32 s0, exec_lo, s16
	v_mov_b32_e32 v15, s17
	s_or_b32 s5, s0, s5
	s_and_not1_b32 s0, s4, exec_lo
	s_and_b32 s4, s15, exec_lo
	s_mov_b32 s17, s18
	s_or_b32 s4, s0, s4
	s_and_not1_b32 exec_lo, exec_lo, s5
	s_cbranch_execz .LBB7_9
.LBB7_7:                                ; =>This Inner Loop Header: Depth=1
	v_mov_b32_e32 v2, v10
	v_dual_mov_b32 v3, v11 :: v_dual_add_nc_u32 v12, s17, v4
	s_or_b32 s15, s15, exec_lo
	s_or_b32 s16, s16, exec_lo
	s_mov_b32 s19, exec_lo
                                        ; implicit-def: $sgpr18
                                        ; implicit-def: $vgpr10_vgpr11
	s_delay_alu instid0(VALU_DEP_1)
	v_cmpx_gt_i32_e64 s14, v12
	s_cbranch_execz .LBB7_6
; %bb.8:                                ;   in Loop: Header=BB7_7 Depth=1
	global_load_b64 v[10:11], v[8:9], off
	s_add_i32 s18, s17, 1
	s_and_not1_b32 s15, s15, exec_lo
	s_waitcnt vmcnt(0)
	v_xor_b32_e32 v11, v11, v1
	v_xor_b32_e32 v10, v10, v0
	s_delay_alu instid0(VALU_DEP_2) | instskip(NEXT) | instid1(VALU_DEP_2)
	v_and_b32_e32 v11, s13, v11
	v_and_b32_e32 v10, s12, v10
	s_delay_alu instid0(VALU_DEP_1) | instskip(SKIP_1) | instid1(VALU_DEP_1)
	v_cmp_ne_u64_e32 vcc_lo, 0, v[10:11]
	v_add_co_u32 v10, s0, v2, 2
	v_add_co_ci_u32_e64 v11, s0, 0, v3, s0
	v_add_co_u32 v8, s0, v8, 8
	s_delay_alu instid0(VALU_DEP_1) | instskip(SKIP_2) | instid1(SALU_CYCLE_1)
	v_add_co_ci_u32_e64 v9, s0, 0, v9, s0
	s_and_not1_b32 s0, s16, exec_lo
	s_and_b32 s16, vcc_lo, exec_lo
	s_or_b32 s16, s0, s16
	s_branch .LBB7_6
.LBB7_9:
	s_set_inst_prefetch_distance 0x2
	s_or_b32 exec_lo, exec_lo, s5
	v_add_nc_u32_e32 v8, -1, v15
	s_xor_b32 s0, s4, -1
	s_delay_alu instid0(SALU_CYCLE_1) | instskip(NEXT) | instid1(SALU_CYCLE_1)
	s_and_saveexec_b32 s4, s0
	s_xor_b32 s0, exec_lo, s4
; %bb.10:
	v_add_nc_u32_e32 v8, -1, v15
; %bb.11:
	s_and_not1_saveexec_b32 s0, s0
	s_delay_alu instid0(SALU_CYCLE_1)
	s_or_b32 exec_lo, exec_lo, s0
	s_waitcnt lgkmcnt(0)
	v_dual_mov_b32 v14, s11 :: v_dual_mov_b32 v13, s10
	v_dual_mov_b32 v0, s8 :: v_dual_mov_b32 v1, s9
	s_bitcmp0_b32 s1, 0
	s_cbranch_scc1 .LBB7_13
; %bb.12:
	v_dual_mov_b32 v0, s10 :: v_dual_mov_b32 v1, s11
	flat_load_b64 v[9:10], v[0:1]
	v_dual_mov_b32 v0, s8 :: v_dual_mov_b32 v1, s9
	flat_load_b64 v[0:1], v[0:1]
	s_waitcnt vmcnt(1) lgkmcnt(1)
	v_add_co_u32 v13, vcc_lo, v9, s2
	v_add_co_ci_u32_e32 v14, vcc_lo, s3, v10, vcc_lo
.LBB7_13:
	v_cmp_ne_u32_e32 vcc_lo, 0, v8
	s_and_b32 exec_lo, exec_lo, vcc_lo
	s_cbranch_execz .LBB7_20
; %bb.14:
	s_delay_alu instid0(VALU_DEP_2)
	v_alignbit_b32 v16, v14, v13, 2
	v_mad_u64_u32 v[8:9], null, 0xcd9e8d57, v4, 0
	v_lshrrev_b32_e32 v14, 2, v14
	s_waitcnt vmcnt(0) lgkmcnt(0)
	v_xor_b32_e32 v12, v1, v5
	v_mad_u64_u32 v[10:11], null, 0xd2511f53, v16, 0
	v_mov_b32_e32 v39, v1
	v_add_co_u32 v18, null, 0x9e3779b9, v0
	v_xor3_b32 v9, v9, v0, v14
	v_add_co_u32 v19, null, 0x3c6ef372, v0
	v_xor_b32_e32 v17, v12, v11
	v_add_co_u32 v20, null, 0x76cf5d0a, v39
	s_delay_alu instid0(VALU_DEP_4) | instskip(NEXT) | instid1(VALU_DEP_3)
	v_mad_u64_u32 v[11:12], null, 0xd2511f53, v9, 0
	v_mad_u64_u32 v[21:22], null, 0xcd9e8d57, v17, 0
	v_add_co_u32 v17, null, 0xbb67ae85, v39
	v_add_co_u32 v25, null, 0xa9066899, v39
	;; [unrolled: 1-line block ×3, first 2 shown]
	s_delay_alu instid0(VALU_DEP_3) | instskip(SKIP_3) | instid1(VALU_DEP_3)
	v_xor3_b32 v10, v17, v12, v10
	v_xor3_b32 v12, v18, v22, v8
	v_add_co_u32 v22, null, 0xdaa66d2b, v0
	s_mov_b32 s0, 0
	v_mad_u64_u32 v[8:9], null, 0xcd9e8d57, v10, 0
	s_delay_alu instid0(VALU_DEP_3) | instskip(NEXT) | instid1(VALU_DEP_2)
	v_mad_u64_u32 v[23:24], null, 0xd2511f53, v12, 0
	v_xor3_b32 v12, v19, v9, v21
	s_delay_alu instid0(VALU_DEP_2) | instskip(SKIP_1) | instid1(VALU_DEP_3)
	v_xor3_b32 v21, v20, v24, v11
	v_add_co_u32 v24, null, 0xed9eba14, v39
	v_mad_u64_u32 v[9:10], null, 0xd2511f53, v12, 0
	s_delay_alu instid0(VALU_DEP_3) | instskip(SKIP_1) | instid1(VALU_DEP_1)
	v_mad_u64_u32 v[11:12], null, 0xcd9e8d57, v21, 0
	v_add_co_u32 v21, null, 0x32370b8f, v39
	v_xor3_b32 v10, v21, v10, v23
	s_delay_alu instid0(VALU_DEP_3) | instskip(SKIP_1) | instid1(VALU_DEP_3)
	v_xor3_b32 v8, v22, v12, v8
	v_add_co_u32 v23, null, 0x78dde6e4, v0
	v_mad_u64_u32 v[27:28], null, 0xcd9e8d57, v10, 0
	s_delay_alu instid0(VALU_DEP_3) | instskip(NEXT) | instid1(VALU_DEP_2)
	v_mad_u64_u32 v[29:30], null, 0xd2511f53, v8, 0
	v_xor3_b32 v10, v23, v28, v11
	v_add_co_u32 v28, null, 0x646e171e, v39
	s_delay_alu instid0(VALU_DEP_3) | instskip(SKIP_1) | instid1(VALU_DEP_4)
	v_xor3_b32 v12, v24, v30, v9
	v_add_co_u32 v30, null, 0x5384540f, v0
	v_mad_u64_u32 v[8:9], null, 0xd2511f53, v10, 0
	s_delay_alu instid0(VALU_DEP_3) | instskip(NEXT) | instid1(VALU_DEP_2)
	v_mad_u64_u32 v[10:11], null, 0xcd9e8d57, v12, 0
	v_xor3_b32 v9, v25, v9, v29
	s_delay_alu instid0(VALU_DEP_2) | instskip(NEXT) | instid1(VALU_DEP_2)
	v_xor3_b32 v27, v26, v11, v27
	v_mad_u64_u32 v[11:12], null, 0xcd9e8d57, v9, 0
	s_delay_alu instid0(VALU_DEP_2) | instskip(SKIP_1) | instid1(VALU_DEP_1)
	v_mad_u64_u32 v[31:32], null, 0xd2511f53, v27, 0
	v_add_co_u32 v27, null, 0xb54cda56, v0
	v_xor3_b32 v10, v27, v12, v10
	s_delay_alu instid0(VALU_DEP_3) | instskip(NEXT) | instid1(VALU_DEP_2)
	v_xor3_b32 v12, v28, v32, v8
	v_mad_u64_u32 v[8:9], null, 0xd2511f53, v10, 0
	s_delay_alu instid0(VALU_DEP_2) | instskip(NEXT) | instid1(VALU_DEP_1)
	v_mad_u64_u32 v[33:34], null, 0xcd9e8d57, v12, 0
	v_xor3_b32 v10, v30, v34, v11
	v_add_nc_u32_e32 v34, 0x8ff34781, v0
	v_add_co_u32 v29, null, 0x1fd5c5a3, v39
	v_add_co_u32 v32, null, 0xdb3d7428, v39
	s_delay_alu instid0(VALU_DEP_4) | instskip(NEXT) | instid1(VALU_DEP_3)
	v_mad_u64_u32 v[37:38], null, 0xd2511f53, v10, 0
	v_xor3_b32 v9, v29, v9, v31
	v_add_co_u32 v31, null, 0xf1bbcdc8, v0
	s_delay_alu instid0(VALU_DEP_2) | instskip(NEXT) | instid1(VALU_DEP_4)
	v_mad_u64_u32 v[35:36], null, 0xcd9e8d57, v9, 0
	v_xor3_b32 v8, v32, v38, v8
	s_delay_alu instid0(VALU_DEP_2) | instskip(SKIP_2) | instid1(VALU_DEP_3)
	v_xor3_b32 v11, v31, v36, v33
	v_add_nc_u32_e32 v33, 0x96a522ad, v1
	v_sub_nc_u32_e32 v36, 0, v15
	v_mad_u64_u32 v[9:10], null, 0xd2511f53, v11, 0
	v_mad_u64_u32 v[11:12], null, 0xcd9e8d57, v8, 0
	v_mov_b32_e32 v8, 0
	s_delay_alu instid0(VALU_DEP_3) | instskip(SKIP_1) | instid1(VALU_DEP_4)
	v_xor3_b32 v38, v10, v37, v33
	v_add_co_u32 v10, vcc_lo, s6, v6
	v_xor3_b32 v39, v12, v35, v34
	v_add_co_ci_u32_e32 v35, vcc_lo, s7, v7, vcc_lo
	s_delay_alu instid0(VALU_DEP_4) | instskip(NEXT) | instid1(VALU_DEP_3)
	v_dual_mov_b32 v40, v38 :: v_dual_and_b32 v37, 3, v13
	v_mov_b32_e32 v13, v39
	s_branch .LBB7_16
.LBB7_15:                               ;   in Loop: Header=BB7_16 Depth=1
	s_or_b32 exec_lo, exec_lo, s1
	v_add_co_u32 v2, vcc_lo, v2, -2
	v_add_co_ci_u32_e32 v3, vcc_lo, -1, v3, vcc_lo
	v_cmp_gt_i32_e32 vcc_lo, 2, v9
	v_dual_mov_b32 v15, v9 :: v_dual_add_nc_u32 v36, 1, v36
	v_dual_mov_b32 v37, v41 :: v_dual_mov_b32 v38, v40
	v_mov_b32_e32 v39, v13
	v_mov_b32_e32 v11, v12
	;; [unrolled: 1-line block ×3, first 2 shown]
	s_or_b32 s0, vcc_lo, s0
	s_delay_alu instid0(SALU_CYCLE_1)
	s_and_not1_b32 exec_lo, exec_lo, s0
	s_cbranch_execz .LBB7_20
.LBB7_16:                               ; =>This Inner Loop Header: Depth=1
	s_delay_alu instid0(VALU_DEP_2) | instskip(SKIP_2) | instid1(VALU_DEP_2)
	v_dual_mov_b32 v12, v11 :: v_dual_add_nc_u32 v41, 1, v37
	v_mov_b32_e32 v6, v9
	s_mov_b32 s1, exec_lo
	v_cmpx_eq_u32_e32 4, v41
	s_cbranch_execz .LBB7_18
; %bb.17:                               ;   in Loop: Header=BB7_16 Depth=1
	v_add_co_u32 v16, vcc_lo, v16, 1
	s_delay_alu instid0(VALU_DEP_1) | instskip(SKIP_1) | instid1(VALU_DEP_1)
	v_cndmask_b32_e64 v6, 0, 1, vcc_lo
	v_add_co_ci_u32_e32 v14, vcc_lo, 0, v14, vcc_lo
	v_cmp_eq_u32_e32 vcc_lo, 0, v14
	s_delay_alu instid0(VALU_DEP_3) | instskip(SKIP_1) | instid1(VALU_DEP_2)
	v_cndmask_b32_e32 v12, 0, v6, vcc_lo
	v_mad_u64_u32 v[6:7], null, 0xd2511f53, v16, 0
	v_add_nc_u32_e32 v4, v12, v4
	s_delay_alu instid0(VALU_DEP_2) | instskip(NEXT) | instid1(VALU_DEP_2)
	v_xor_b32_e32 v7, v7, v1
	v_cmp_eq_u32_e32 vcc_lo, 0, v4
	v_cndmask_b32_e32 v40, 0, v12, vcc_lo
	v_mad_u64_u32 v[12:13], null, 0xcd9e8d57, v4, 0
	s_delay_alu instid0(VALU_DEP_2) | instskip(NEXT) | instid1(VALU_DEP_2)
	v_add_nc_u32_e32 v5, v40, v5
	v_xor3_b32 v13, v13, v0, v14
	s_delay_alu instid0(VALU_DEP_2) | instskip(NEXT) | instid1(VALU_DEP_2)
	v_xor_b32_e32 v7, v5, v7
	v_mad_u64_u32 v[40:41], null, 0xd2511f53, v13, 0
	s_delay_alu instid0(VALU_DEP_2) | instskip(NEXT) | instid1(VALU_DEP_2)
	v_mad_u64_u32 v[42:43], null, 0xcd9e8d57, v7, 0
	v_xor3_b32 v13, v17, v41, v6
	s_delay_alu instid0(VALU_DEP_2) | instskip(NEXT) | instid1(VALU_DEP_2)
	v_xor3_b32 v41, v18, v43, v12
	v_mad_u64_u32 v[6:7], null, 0xcd9e8d57, v13, 0
	s_delay_alu instid0(VALU_DEP_2) | instskip(NEXT) | instid1(VALU_DEP_2)
	v_mad_u64_u32 v[12:13], null, 0xd2511f53, v41, 0
	v_xor3_b32 v7, v19, v7, v42
	s_delay_alu instid0(VALU_DEP_2) | instskip(NEXT) | instid1(VALU_DEP_2)
	v_xor3_b32 v13, v20, v13, v40
	;; [unrolled: 6-line block ×6, first 2 shown]
	v_mad_u64_u32 v[40:41], null, 0xd2511f53, v7, 0
	s_delay_alu instid0(VALU_DEP_2) | instskip(NEXT) | instid1(VALU_DEP_2)
	v_mad_u64_u32 v[42:43], null, 0xcd9e8d57, v13, 0
	v_xor3_b32 v7, v29, v41, v12
	v_mov_b32_e32 v41, 0
	s_delay_alu instid0(VALU_DEP_3) | instskip(NEXT) | instid1(VALU_DEP_3)
	v_xor3_b32 v6, v30, v43, v6
	v_mad_u64_u32 v[43:44], null, 0xcd9e8d57, v7, 0
	s_delay_alu instid0(VALU_DEP_2) | instskip(NEXT) | instid1(VALU_DEP_2)
	v_mad_u64_u32 v[45:46], null, 0xd2511f53, v6, 0
	v_xor3_b32 v12, v31, v44, v42
	s_delay_alu instid0(VALU_DEP_2) | instskip(NEXT) | instid1(VALU_DEP_2)
	v_xor3_b32 v40, v32, v46, v40
	v_mad_u64_u32 v[6:7], null, 0xd2511f53, v12, 0
	s_delay_alu instid0(VALU_DEP_2) | instskip(NEXT) | instid1(VALU_DEP_2)
	v_mad_u64_u32 v[12:13], null, 0xcd9e8d57, v40, 0
	v_xor3_b32 v40, v7, v45, v33
	s_delay_alu instid0(VALU_DEP_2)
	v_xor3_b32 v13, v13, v43, v34
.LBB7_18:                               ;   in Loop: Header=BB7_16 Depth=1
	s_or_b32 exec_lo, exec_lo, s1
	v_cvt_f32_u32_e32 v7, v15
	v_cmp_eq_u32_e32 vcc_lo, 1, v37
	s_mov_b32 s1, exec_lo
	s_delay_alu instid0(VALU_DEP_2) | instskip(SKIP_2) | instid1(VALU_DEP_2)
	v_rcp_iflag_f32_e32 v7, v7
	v_cndmask_b32_e32 v11, v39, v11, vcc_lo
	v_cmp_eq_u32_e32 vcc_lo, 2, v37
	v_cndmask_b32_e32 v11, v11, v38, vcc_lo
	v_cmp_eq_u32_e32 vcc_lo, 3, v37
	s_waitcnt_depctr 0xfff
	v_mul_f32_e32 v7, 0x4f7ffffe, v7
	v_cndmask_b32_e32 v9, v11, v9, vcc_lo
	s_delay_alu instid0(VALU_DEP_2) | instskip(NEXT) | instid1(VALU_DEP_1)
	v_cvt_u32_f32_e32 v7, v7
	v_mul_lo_u32 v42, v36, v7
	s_delay_alu instid0(VALU_DEP_1) | instskip(NEXT) | instid1(VALU_DEP_1)
	v_mul_hi_u32 v39, v7, v42
	v_add_nc_u32_e32 v7, v7, v39
	s_delay_alu instid0(VALU_DEP_1) | instskip(NEXT) | instid1(VALU_DEP_1)
	v_mul_hi_u32 v7, v9, v7
	v_mul_lo_u32 v7, v7, v15
	s_delay_alu instid0(VALU_DEP_1) | instskip(NEXT) | instid1(VALU_DEP_1)
	v_sub_nc_u32_e32 v7, v9, v7
	v_sub_nc_u32_e32 v9, v7, v15
	v_cmp_ge_u32_e32 vcc_lo, v7, v15
	s_delay_alu instid0(VALU_DEP_2) | instskip(SKIP_1) | instid1(VALU_DEP_2)
	v_cndmask_b32_e32 v7, v7, v9, vcc_lo
	v_add_nc_u32_e32 v9, -1, v15
	v_add_nc_u32_e32 v11, v7, v36
	v_cmp_ge_u32_e32 vcc_lo, v7, v15
	s_delay_alu instid0(VALU_DEP_2) | instskip(NEXT) | instid1(VALU_DEP_1)
	v_cndmask_b32_e32 v7, v7, v11, vcc_lo
	v_cmpx_ne_u32_e64 v9, v7
	s_cbranch_execz .LBB7_15
; %bb.19:                               ;   in Loop: Header=BB7_16 Depth=1
	v_lshlrev_b64 v[37:38], 1, v[7:8]
	s_delay_alu instid0(VALU_DEP_1) | instskip(NEXT) | instid1(VALU_DEP_2)
	v_add_co_u32 v37, vcc_lo, v10, v37
	v_add_co_ci_u32_e32 v38, vcc_lo, v35, v38, vcc_lo
	global_load_u16 v7, v[37:38], off
	global_load_u16 v11, v[2:3], off
	s_waitcnt vmcnt(1)
	global_store_b16 v[2:3], v7, off
	s_waitcnt vmcnt(0)
	global_store_b16 v[37:38], v11, off
	s_branch .LBB7_15
.LBB7_20:
	s_nop 0
	s_sendmsg sendmsg(MSG_DEALLOC_VGPRS)
	s_endpgm
	.section	.rodata,"a",@progbits
	.p2align	6, 0x0
	.amdhsa_kernel _ZN12_GLOBAL__N_137randperm_handle_duplicate_keys_kernelIlN2at6native12_GLOBAL__N_110OpaqueTypeILi2EEEEEvPT_PT0_S6_iNS1_15PhiloxCudaStateE
		.amdhsa_group_segment_fixed_size 0
		.amdhsa_private_segment_fixed_size 0
		.amdhsa_kernarg_size 320
		.amdhsa_user_sgpr_count 15
		.amdhsa_user_sgpr_dispatch_ptr 0
		.amdhsa_user_sgpr_queue_ptr 0
		.amdhsa_user_sgpr_kernarg_segment_ptr 1
		.amdhsa_user_sgpr_dispatch_id 0
		.amdhsa_user_sgpr_private_segment_size 0
		.amdhsa_wavefront_size32 1
		.amdhsa_uses_dynamic_stack 0
		.amdhsa_enable_private_segment 0
		.amdhsa_system_sgpr_workgroup_id_x 1
		.amdhsa_system_sgpr_workgroup_id_y 0
		.amdhsa_system_sgpr_workgroup_id_z 0
		.amdhsa_system_sgpr_workgroup_info 0
		.amdhsa_system_vgpr_workitem_id 0
		.amdhsa_next_free_vgpr 47
		.amdhsa_next_free_sgpr 20
		.amdhsa_reserve_vcc 1
		.amdhsa_float_round_mode_32 0
		.amdhsa_float_round_mode_16_64 0
		.amdhsa_float_denorm_mode_32 3
		.amdhsa_float_denorm_mode_16_64 3
		.amdhsa_dx10_clamp 1
		.amdhsa_ieee_mode 1
		.amdhsa_fp16_overflow 0
		.amdhsa_workgroup_processor_mode 1
		.amdhsa_memory_ordered 1
		.amdhsa_forward_progress 0
		.amdhsa_shared_vgpr_count 0
		.amdhsa_exception_fp_ieee_invalid_op 0
		.amdhsa_exception_fp_denorm_src 0
		.amdhsa_exception_fp_ieee_div_zero 0
		.amdhsa_exception_fp_ieee_overflow 0
		.amdhsa_exception_fp_ieee_underflow 0
		.amdhsa_exception_fp_ieee_inexact 0
		.amdhsa_exception_int_div_zero 0
	.end_amdhsa_kernel
	.section	.text._ZN12_GLOBAL__N_137randperm_handle_duplicate_keys_kernelIlN2at6native12_GLOBAL__N_110OpaqueTypeILi2EEEEEvPT_PT0_S6_iNS1_15PhiloxCudaStateE,"axG",@progbits,_ZN12_GLOBAL__N_137randperm_handle_duplicate_keys_kernelIlN2at6native12_GLOBAL__N_110OpaqueTypeILi2EEEEEvPT_PT0_S6_iNS1_15PhiloxCudaStateE,comdat
.Lfunc_end7:
	.size	_ZN12_GLOBAL__N_137randperm_handle_duplicate_keys_kernelIlN2at6native12_GLOBAL__N_110OpaqueTypeILi2EEEEEvPT_PT0_S6_iNS1_15PhiloxCudaStateE, .Lfunc_end7-_ZN12_GLOBAL__N_137randperm_handle_duplicate_keys_kernelIlN2at6native12_GLOBAL__N_110OpaqueTypeILi2EEEEEvPT_PT0_S6_iNS1_15PhiloxCudaStateE
                                        ; -- End function
	.section	.AMDGPU.csdata,"",@progbits
; Kernel info:
; codeLenInByte = 2256
; NumSgprs: 22
; NumVgprs: 47
; ScratchSize: 0
; MemoryBound: 0
; FloatMode: 240
; IeeeMode: 1
; LDSByteSize: 0 bytes/workgroup (compile time only)
; SGPRBlocks: 2
; VGPRBlocks: 5
; NumSGPRsForWavesPerEU: 22
; NumVGPRsForWavesPerEU: 47
; Occupancy: 16
; WaveLimiterHint : 0
; COMPUTE_PGM_RSRC2:SCRATCH_EN: 0
; COMPUTE_PGM_RSRC2:USER_SGPR: 15
; COMPUTE_PGM_RSRC2:TRAP_HANDLER: 0
; COMPUTE_PGM_RSRC2:TGID_X_EN: 1
; COMPUTE_PGM_RSRC2:TGID_Y_EN: 0
; COMPUTE_PGM_RSRC2:TGID_Z_EN: 0
; COMPUTE_PGM_RSRC2:TIDIG_COMP_CNT: 0
	.text
	.p2alignl 7, 3214868480
	.fill 96, 4, 3214868480
	.type	__hip_cuid_6fc6bc54c4f7da3a,@object ; @__hip_cuid_6fc6bc54c4f7da3a
	.section	.bss,"aw",@nobits
	.globl	__hip_cuid_6fc6bc54c4f7da3a
__hip_cuid_6fc6bc54c4f7da3a:
	.byte	0                               ; 0x0
	.size	__hip_cuid_6fc6bc54c4f7da3a, 1

	.ident	"AMD clang version 19.0.0git (https://github.com/RadeonOpenCompute/llvm-project roc-6.4.0 25133 c7fe45cf4b819c5991fe208aaa96edf142730f1d)"
	.section	".note.GNU-stack","",@progbits
	.addrsig
	.addrsig_sym __hip_cuid_6fc6bc54c4f7da3a
	.amdgpu_metadata
---
amdhsa.kernels:
  - .args:
      - .address_space:  global
        .offset:         0
        .size:           8
        .value_kind:     global_buffer
      - .address_space:  global
        .offset:         8
        .size:           8
        .value_kind:     global_buffer
      - .offset:         16
        .size:           4
        .value_kind:     by_value
      - .offset:         20
        .size:           4
        .value_kind:     by_value
      - .offset:         24
        .size:           32
        .value_kind:     by_value
      - .offset:         56
        .size:           4
        .value_kind:     hidden_block_count_x
      - .offset:         60
        .size:           4
        .value_kind:     hidden_block_count_y
      - .offset:         64
        .size:           4
        .value_kind:     hidden_block_count_z
      - .offset:         68
        .size:           2
        .value_kind:     hidden_group_size_x
      - .offset:         70
        .size:           2
        .value_kind:     hidden_group_size_y
      - .offset:         72
        .size:           2
        .value_kind:     hidden_group_size_z
      - .offset:         74
        .size:           2
        .value_kind:     hidden_remainder_x
      - .offset:         76
        .size:           2
        .value_kind:     hidden_remainder_y
      - .offset:         78
        .size:           2
        .value_kind:     hidden_remainder_z
      - .offset:         96
        .size:           8
        .value_kind:     hidden_global_offset_x
      - .offset:         104
        .size:           8
        .value_kind:     hidden_global_offset_y
      - .offset:         112
        .size:           8
        .value_kind:     hidden_global_offset_z
      - .offset:         120
        .size:           2
        .value_kind:     hidden_grid_dims
    .group_segment_fixed_size: 0
    .kernarg_segment_align: 8
    .kernarg_segment_size: 312
    .language:       OpenCL C
    .language_version:
      - 2
      - 0
    .max_flat_workgroup_size: 1024
    .name:           _ZN12_GLOBAL__N_137randperm_handle_duplicate_keys_kernelIiN2at6native12_GLOBAL__N_110OpaqueTypeILi1EEEEEvPT_PT0_S6_iNS1_15PhiloxCudaStateE
    .private_segment_fixed_size: 0
    .sgpr_count:     23
    .sgpr_spill_count: 0
    .symbol:         _ZN12_GLOBAL__N_137randperm_handle_duplicate_keys_kernelIiN2at6native12_GLOBAL__N_110OpaqueTypeILi1EEEEEvPT_PT0_S6_iNS1_15PhiloxCudaStateE.kd
    .uniform_work_group_size: 1
    .uses_dynamic_stack: false
    .vgpr_count:     45
    .vgpr_spill_count: 0
    .wavefront_size: 32
    .workgroup_processor_mode: 1
  - .args:
      - .address_space:  global
        .offset:         0
        .size:           8
        .value_kind:     global_buffer
      - .address_space:  global
        .offset:         8
        .size:           8
        .value_kind:     global_buffer
      - .offset:         16
        .size:           4
        .value_kind:     by_value
      - .offset:         20
        .size:           4
        .value_kind:     by_value
      - .offset:         24
        .size:           32
        .value_kind:     by_value
      - .offset:         56
        .size:           4
        .value_kind:     hidden_block_count_x
      - .offset:         60
        .size:           4
        .value_kind:     hidden_block_count_y
      - .offset:         64
        .size:           4
        .value_kind:     hidden_block_count_z
      - .offset:         68
        .size:           2
        .value_kind:     hidden_group_size_x
      - .offset:         70
        .size:           2
        .value_kind:     hidden_group_size_y
      - .offset:         72
        .size:           2
        .value_kind:     hidden_group_size_z
      - .offset:         74
        .size:           2
        .value_kind:     hidden_remainder_x
      - .offset:         76
        .size:           2
        .value_kind:     hidden_remainder_y
      - .offset:         78
        .size:           2
        .value_kind:     hidden_remainder_z
      - .offset:         96
        .size:           8
        .value_kind:     hidden_global_offset_x
      - .offset:         104
        .size:           8
        .value_kind:     hidden_global_offset_y
      - .offset:         112
        .size:           8
        .value_kind:     hidden_global_offset_z
      - .offset:         120
        .size:           2
        .value_kind:     hidden_grid_dims
    .group_segment_fixed_size: 0
    .kernarg_segment_align: 8
    .kernarg_segment_size: 312
    .language:       OpenCL C
    .language_version:
      - 2
      - 0
    .max_flat_workgroup_size: 1024
    .name:           _ZN12_GLOBAL__N_137randperm_handle_duplicate_keys_kernelIiN2at6native12_GLOBAL__N_110OpaqueTypeILi4EEEEEvPT_PT0_S6_iNS1_15PhiloxCudaStateE
    .private_segment_fixed_size: 0
    .sgpr_count:     21
    .sgpr_spill_count: 0
    .symbol:         _ZN12_GLOBAL__N_137randperm_handle_duplicate_keys_kernelIiN2at6native12_GLOBAL__N_110OpaqueTypeILi4EEEEEvPT_PT0_S6_iNS1_15PhiloxCudaStateE.kd
    .uniform_work_group_size: 1
    .uses_dynamic_stack: false
    .vgpr_count:     47
    .vgpr_spill_count: 0
    .wavefront_size: 32
    .workgroup_processor_mode: 1
  - .args:
      - .address_space:  global
        .offset:         0
        .size:           8
        .value_kind:     global_buffer
      - .address_space:  global
        .offset:         8
        .size:           8
        .value_kind:     global_buffer
      - .offset:         16
        .size:           4
        .value_kind:     by_value
      - .offset:         20
        .size:           4
        .value_kind:     by_value
      - .offset:         24
        .size:           32
        .value_kind:     by_value
      - .offset:         56
        .size:           4
        .value_kind:     hidden_block_count_x
      - .offset:         60
        .size:           4
        .value_kind:     hidden_block_count_y
      - .offset:         64
        .size:           4
        .value_kind:     hidden_block_count_z
      - .offset:         68
        .size:           2
        .value_kind:     hidden_group_size_x
      - .offset:         70
        .size:           2
        .value_kind:     hidden_group_size_y
      - .offset:         72
        .size:           2
        .value_kind:     hidden_group_size_z
      - .offset:         74
        .size:           2
        .value_kind:     hidden_remainder_x
      - .offset:         76
        .size:           2
        .value_kind:     hidden_remainder_y
      - .offset:         78
        .size:           2
        .value_kind:     hidden_remainder_z
      - .offset:         96
        .size:           8
        .value_kind:     hidden_global_offset_x
      - .offset:         104
        .size:           8
        .value_kind:     hidden_global_offset_y
      - .offset:         112
        .size:           8
        .value_kind:     hidden_global_offset_z
      - .offset:         120
        .size:           2
        .value_kind:     hidden_grid_dims
    .group_segment_fixed_size: 0
    .kernarg_segment_align: 8
    .kernarg_segment_size: 312
    .language:       OpenCL C
    .language_version:
      - 2
      - 0
    .max_flat_workgroup_size: 1024
    .name:           _ZN12_GLOBAL__N_137randperm_handle_duplicate_keys_kernelIiN2at6native12_GLOBAL__N_110OpaqueTypeILi8EEEEEvPT_PT0_S6_iNS1_15PhiloxCudaStateE
    .private_segment_fixed_size: 0
    .sgpr_count:     21
    .sgpr_spill_count: 0
    .symbol:         _ZN12_GLOBAL__N_137randperm_handle_duplicate_keys_kernelIiN2at6native12_GLOBAL__N_110OpaqueTypeILi8EEEEEvPT_PT0_S6_iNS1_15PhiloxCudaStateE.kd
    .uniform_work_group_size: 1
    .uses_dynamic_stack: false
    .vgpr_count:     47
    .vgpr_spill_count: 0
    .wavefront_size: 32
    .workgroup_processor_mode: 1
  - .args:
      - .address_space:  global
        .offset:         0
        .size:           8
        .value_kind:     global_buffer
      - .address_space:  global
        .offset:         8
        .size:           8
        .value_kind:     global_buffer
      - .offset:         16
        .size:           4
        .value_kind:     by_value
      - .offset:         20
        .size:           4
        .value_kind:     by_value
      - .offset:         24
        .size:           32
        .value_kind:     by_value
      - .offset:         56
        .size:           4
        .value_kind:     hidden_block_count_x
      - .offset:         60
        .size:           4
        .value_kind:     hidden_block_count_y
      - .offset:         64
        .size:           4
        .value_kind:     hidden_block_count_z
      - .offset:         68
        .size:           2
        .value_kind:     hidden_group_size_x
      - .offset:         70
        .size:           2
        .value_kind:     hidden_group_size_y
      - .offset:         72
        .size:           2
        .value_kind:     hidden_group_size_z
      - .offset:         74
        .size:           2
        .value_kind:     hidden_remainder_x
      - .offset:         76
        .size:           2
        .value_kind:     hidden_remainder_y
      - .offset:         78
        .size:           2
        .value_kind:     hidden_remainder_z
      - .offset:         96
        .size:           8
        .value_kind:     hidden_global_offset_x
      - .offset:         104
        .size:           8
        .value_kind:     hidden_global_offset_y
      - .offset:         112
        .size:           8
        .value_kind:     hidden_global_offset_z
      - .offset:         120
        .size:           2
        .value_kind:     hidden_grid_dims
    .group_segment_fixed_size: 0
    .kernarg_segment_align: 8
    .kernarg_segment_size: 312
    .language:       OpenCL C
    .language_version:
      - 2
      - 0
    .max_flat_workgroup_size: 1024
    .name:           _ZN12_GLOBAL__N_137randperm_handle_duplicate_keys_kernelIiN2at6native12_GLOBAL__N_110OpaqueTypeILi2EEEEEvPT_PT0_S6_iNS1_15PhiloxCudaStateE
    .private_segment_fixed_size: 0
    .sgpr_count:     21
    .sgpr_spill_count: 0
    .symbol:         _ZN12_GLOBAL__N_137randperm_handle_duplicate_keys_kernelIiN2at6native12_GLOBAL__N_110OpaqueTypeILi2EEEEEvPT_PT0_S6_iNS1_15PhiloxCudaStateE.kd
    .uniform_work_group_size: 1
    .uses_dynamic_stack: false
    .vgpr_count:     47
    .vgpr_spill_count: 0
    .wavefront_size: 32
    .workgroup_processor_mode: 1
  - .args:
      - .address_space:  global
        .offset:         0
        .size:           8
        .value_kind:     global_buffer
      - .address_space:  global
        .offset:         8
        .size:           8
        .value_kind:     global_buffer
      - .offset:         16
        .size:           8
        .value_kind:     by_value
      - .offset:         24
        .size:           4
        .value_kind:     by_value
      - .offset:         32
        .size:           32
        .value_kind:     by_value
      - .offset:         64
        .size:           4
        .value_kind:     hidden_block_count_x
      - .offset:         68
        .size:           4
        .value_kind:     hidden_block_count_y
      - .offset:         72
        .size:           4
        .value_kind:     hidden_block_count_z
      - .offset:         76
        .size:           2
        .value_kind:     hidden_group_size_x
      - .offset:         78
        .size:           2
        .value_kind:     hidden_group_size_y
      - .offset:         80
        .size:           2
        .value_kind:     hidden_group_size_z
      - .offset:         82
        .size:           2
        .value_kind:     hidden_remainder_x
      - .offset:         84
        .size:           2
        .value_kind:     hidden_remainder_y
      - .offset:         86
        .size:           2
        .value_kind:     hidden_remainder_z
      - .offset:         104
        .size:           8
        .value_kind:     hidden_global_offset_x
      - .offset:         112
        .size:           8
        .value_kind:     hidden_global_offset_y
      - .offset:         120
        .size:           8
        .value_kind:     hidden_global_offset_z
      - .offset:         128
        .size:           2
        .value_kind:     hidden_grid_dims
    .group_segment_fixed_size: 0
    .kernarg_segment_align: 8
    .kernarg_segment_size: 320
    .language:       OpenCL C
    .language_version:
      - 2
      - 0
    .max_flat_workgroup_size: 1024
    .name:           _ZN12_GLOBAL__N_137randperm_handle_duplicate_keys_kernelIlN2at6native12_GLOBAL__N_110OpaqueTypeILi1EEEEEvPT_PT0_S6_iNS1_15PhiloxCudaStateE
    .private_segment_fixed_size: 0
    .sgpr_count:     24
    .sgpr_spill_count: 0
    .symbol:         _ZN12_GLOBAL__N_137randperm_handle_duplicate_keys_kernelIlN2at6native12_GLOBAL__N_110OpaqueTypeILi1EEEEEvPT_PT0_S6_iNS1_15PhiloxCudaStateE.kd
    .uniform_work_group_size: 1
    .uses_dynamic_stack: false
    .vgpr_count:     45
    .vgpr_spill_count: 0
    .wavefront_size: 32
    .workgroup_processor_mode: 1
  - .args:
      - .address_space:  global
        .offset:         0
        .size:           8
        .value_kind:     global_buffer
      - .address_space:  global
        .offset:         8
        .size:           8
        .value_kind:     global_buffer
      - .offset:         16
        .size:           8
        .value_kind:     by_value
      - .offset:         24
        .size:           4
        .value_kind:     by_value
      - .offset:         32
        .size:           32
        .value_kind:     by_value
      - .offset:         64
        .size:           4
        .value_kind:     hidden_block_count_x
      - .offset:         68
        .size:           4
        .value_kind:     hidden_block_count_y
      - .offset:         72
        .size:           4
        .value_kind:     hidden_block_count_z
      - .offset:         76
        .size:           2
        .value_kind:     hidden_group_size_x
      - .offset:         78
        .size:           2
        .value_kind:     hidden_group_size_y
      - .offset:         80
        .size:           2
        .value_kind:     hidden_group_size_z
      - .offset:         82
        .size:           2
        .value_kind:     hidden_remainder_x
      - .offset:         84
        .size:           2
        .value_kind:     hidden_remainder_y
      - .offset:         86
        .size:           2
        .value_kind:     hidden_remainder_z
      - .offset:         104
        .size:           8
        .value_kind:     hidden_global_offset_x
      - .offset:         112
        .size:           8
        .value_kind:     hidden_global_offset_y
      - .offset:         120
        .size:           8
        .value_kind:     hidden_global_offset_z
      - .offset:         128
        .size:           2
        .value_kind:     hidden_grid_dims
    .group_segment_fixed_size: 0
    .kernarg_segment_align: 8
    .kernarg_segment_size: 320
    .language:       OpenCL C
    .language_version:
      - 2
      - 0
    .max_flat_workgroup_size: 1024
    .name:           _ZN12_GLOBAL__N_137randperm_handle_duplicate_keys_kernelIlN2at6native12_GLOBAL__N_110OpaqueTypeILi4EEEEEvPT_PT0_S6_iNS1_15PhiloxCudaStateE
    .private_segment_fixed_size: 0
    .sgpr_count:     22
    .sgpr_spill_count: 0
    .symbol:         _ZN12_GLOBAL__N_137randperm_handle_duplicate_keys_kernelIlN2at6native12_GLOBAL__N_110OpaqueTypeILi4EEEEEvPT_PT0_S6_iNS1_15PhiloxCudaStateE.kd
    .uniform_work_group_size: 1
    .uses_dynamic_stack: false
    .vgpr_count:     47
    .vgpr_spill_count: 0
    .wavefront_size: 32
    .workgroup_processor_mode: 1
  - .args:
      - .address_space:  global
        .offset:         0
        .size:           8
        .value_kind:     global_buffer
      - .address_space:  global
        .offset:         8
        .size:           8
        .value_kind:     global_buffer
      - .offset:         16
        .size:           8
        .value_kind:     by_value
      - .offset:         24
        .size:           4
        .value_kind:     by_value
      - .offset:         32
        .size:           32
        .value_kind:     by_value
      - .offset:         64
        .size:           4
        .value_kind:     hidden_block_count_x
      - .offset:         68
        .size:           4
        .value_kind:     hidden_block_count_y
      - .offset:         72
        .size:           4
        .value_kind:     hidden_block_count_z
      - .offset:         76
        .size:           2
        .value_kind:     hidden_group_size_x
      - .offset:         78
        .size:           2
        .value_kind:     hidden_group_size_y
      - .offset:         80
        .size:           2
        .value_kind:     hidden_group_size_z
      - .offset:         82
        .size:           2
        .value_kind:     hidden_remainder_x
      - .offset:         84
        .size:           2
        .value_kind:     hidden_remainder_y
      - .offset:         86
        .size:           2
        .value_kind:     hidden_remainder_z
      - .offset:         104
        .size:           8
        .value_kind:     hidden_global_offset_x
      - .offset:         112
        .size:           8
        .value_kind:     hidden_global_offset_y
      - .offset:         120
        .size:           8
        .value_kind:     hidden_global_offset_z
      - .offset:         128
        .size:           2
        .value_kind:     hidden_grid_dims
    .group_segment_fixed_size: 0
    .kernarg_segment_align: 8
    .kernarg_segment_size: 320
    .language:       OpenCL C
    .language_version:
      - 2
      - 0
    .max_flat_workgroup_size: 1024
    .name:           _ZN12_GLOBAL__N_137randperm_handle_duplicate_keys_kernelIlN2at6native12_GLOBAL__N_110OpaqueTypeILi8EEEEEvPT_PT0_S6_iNS1_15PhiloxCudaStateE
    .private_segment_fixed_size: 0
    .sgpr_count:     22
    .sgpr_spill_count: 0
    .symbol:         _ZN12_GLOBAL__N_137randperm_handle_duplicate_keys_kernelIlN2at6native12_GLOBAL__N_110OpaqueTypeILi8EEEEEvPT_PT0_S6_iNS1_15PhiloxCudaStateE.kd
    .uniform_work_group_size: 1
    .uses_dynamic_stack: false
    .vgpr_count:     47
    .vgpr_spill_count: 0
    .wavefront_size: 32
    .workgroup_processor_mode: 1
  - .args:
      - .address_space:  global
        .offset:         0
        .size:           8
        .value_kind:     global_buffer
      - .address_space:  global
        .offset:         8
        .size:           8
        .value_kind:     global_buffer
      - .offset:         16
        .size:           8
        .value_kind:     by_value
      - .offset:         24
        .size:           4
        .value_kind:     by_value
      - .offset:         32
        .size:           32
        .value_kind:     by_value
      - .offset:         64
        .size:           4
        .value_kind:     hidden_block_count_x
      - .offset:         68
        .size:           4
        .value_kind:     hidden_block_count_y
      - .offset:         72
        .size:           4
        .value_kind:     hidden_block_count_z
      - .offset:         76
        .size:           2
        .value_kind:     hidden_group_size_x
      - .offset:         78
        .size:           2
        .value_kind:     hidden_group_size_y
      - .offset:         80
        .size:           2
        .value_kind:     hidden_group_size_z
      - .offset:         82
        .size:           2
        .value_kind:     hidden_remainder_x
      - .offset:         84
        .size:           2
        .value_kind:     hidden_remainder_y
      - .offset:         86
        .size:           2
        .value_kind:     hidden_remainder_z
      - .offset:         104
        .size:           8
        .value_kind:     hidden_global_offset_x
      - .offset:         112
        .size:           8
        .value_kind:     hidden_global_offset_y
      - .offset:         120
        .size:           8
        .value_kind:     hidden_global_offset_z
      - .offset:         128
        .size:           2
        .value_kind:     hidden_grid_dims
    .group_segment_fixed_size: 0
    .kernarg_segment_align: 8
    .kernarg_segment_size: 320
    .language:       OpenCL C
    .language_version:
      - 2
      - 0
    .max_flat_workgroup_size: 1024
    .name:           _ZN12_GLOBAL__N_137randperm_handle_duplicate_keys_kernelIlN2at6native12_GLOBAL__N_110OpaqueTypeILi2EEEEEvPT_PT0_S6_iNS1_15PhiloxCudaStateE
    .private_segment_fixed_size: 0
    .sgpr_count:     22
    .sgpr_spill_count: 0
    .symbol:         _ZN12_GLOBAL__N_137randperm_handle_duplicate_keys_kernelIlN2at6native12_GLOBAL__N_110OpaqueTypeILi2EEEEEvPT_PT0_S6_iNS1_15PhiloxCudaStateE.kd
    .uniform_work_group_size: 1
    .uses_dynamic_stack: false
    .vgpr_count:     47
    .vgpr_spill_count: 0
    .wavefront_size: 32
    .workgroup_processor_mode: 1
amdhsa.target:   amdgcn-amd-amdhsa--gfx1100
amdhsa.version:
  - 1
  - 2
...

	.end_amdgpu_metadata
